;; amdgpu-corpus repo=ROCm/Tensile kind=harvested arch=n/a opt=n/a

/******************************************/
/* Function Prefix                        */
/******************************************/



/******************************************/
/* Begin Kernel                           */
/******************************************/

// Component.Signature.SignatureDefault
.amdgcn_target "amdgcn-amd-amdhsa--gfx90a"
.text
.protected Cijk_Ailk_Bljk_DB_MT1024x32x8_MI16x16x4x1_SN_1LDSB0_APM1_ABV0_ACED0_AF0EM2_AF1EM1_AMAS3_ASE_ASGT_ASLT117_ASEM1_AAC0_BL1_BS1_CLR0_DTVA1_DVO0_ETSP_EPS1_EMLL0_FL0_GLVWA2_GLVWB1_GRPM0p30_GRVW2_GSU1_GSUASB_GLS0_ISA90a_IU1_K1_KLA_LBSPPA0_LBSPPB0_LPA0_LPB4_LDL1_LRVW1_LWPMn1_LDW0_FMA_MIAV0_MO40_MMFGLC_NTA0_NTB0_NTC0_NTD0_NEPBS0_NLCA8_NLCB1_ONLL1_OPLV0_PK0_PAP0_PGR1_PLR2_SIA3_SS1_SU32_SUM0_SUS256_SCIUI1_SPO0_SRVW0_SSO0_SVW2_SNLL0_TSGRA0_TSGRB0_TT16_32_TLDS1_UMLDSA0_UMLDSB1_USFGROn1_VAW1_VSn1_VW2_VWB1_VFLRP0_WSGRA0_WSGRB0_WG64_4_1_WGM4
.globl Cijk_Ailk_Bljk_DB_MT1024x32x8_MI16x16x4x1_SN_1LDSB0_APM1_ABV0_ACED0_AF0EM2_AF1EM1_AMAS3_ASE_ASGT_ASLT117_ASEM1_AAC0_BL1_BS1_CLR0_DTVA1_DVO0_ETSP_EPS1_EMLL0_FL0_GLVWA2_GLVWB1_GRPM0p30_GRVW2_GSU1_GSUASB_GLS0_ISA90a_IU1_K1_KLA_LBSPPA0_LBSPPB0_LPA0_LPB4_LDL1_LRVW1_LWPMn1_LDW0_FMA_MIAV0_MO40_MMFGLC_NTA0_NTB0_NTC0_NTD0_NEPBS0_NLCA8_NLCB1_ONLL1_OPLV0_PK0_PAP0_PGR1_PLR2_SIA3_SS1_SU32_SUM0_SUS256_SCIUI1_SPO0_SRVW0_SSO0_SVW2_SNLL0_TSGRA0_TSGRB0_TT16_32_TLDS1_UMLDSA0_UMLDSB1_USFGROn1_VAW1_VSn1_VW2_VWB1_VFLRP0_WSGRA0_WSGRB0_WG64_4_1_WGM4
.p2align 8
.type Cijk_Ailk_Bljk_DB_MT1024x32x8_MI16x16x4x1_SN_1LDSB0_APM1_ABV0_ACED0_AF0EM2_AF1EM1_AMAS3_ASE_ASGT_ASLT117_ASEM1_AAC0_BL1_BS1_CLR0_DTVA1_DVO0_ETSP_EPS1_EMLL0_FL0_GLVWA2_GLVWB1_GRPM0p30_GRVW2_GSU1_GSUASB_GLS0_ISA90a_IU1_K1_KLA_LBSPPA0_LBSPPB0_LPA0_LPB4_LDL1_LRVW1_LWPMn1_LDW0_FMA_MIAV0_MO40_MMFGLC_NTA0_NTB0_NTC0_NTD0_NEPBS0_NLCA8_NLCB1_ONLL1_OPLV0_PK0_PAP0_PGR1_PLR2_SIA3_SS1_SU32_SUM0_SUS256_SCIUI1_SPO0_SRVW0_SSO0_SVW2_SNLL0_TSGRA0_TSGRB0_TT16_32_TLDS1_UMLDSA0_UMLDSB1_USFGROn1_VAW1_VSn1_VW2_VWB1_VFLRP0_WSGRA0_WSGRB0_WG64_4_1_WGM4,@function
.section .rodata,#alloc
.p2align 6
.amdhsa_kernel Cijk_Ailk_Bljk_DB_MT1024x32x8_MI16x16x4x1_SN_1LDSB0_APM1_ABV0_ACED0_AF0EM2_AF1EM1_AMAS3_ASE_ASGT_ASLT117_ASEM1_AAC0_BL1_BS1_CLR0_DTVA1_DVO0_ETSP_EPS1_EMLL0_FL0_GLVWA2_GLVWB1_GRPM0p30_GRVW2_GSU1_GSUASB_GLS0_ISA90a_IU1_K1_KLA_LBSPPA0_LBSPPB0_LPA0_LPB4_LDL1_LRVW1_LWPMn1_LDW0_FMA_MIAV0_MO40_MMFGLC_NTA0_NTB0_NTC0_NTD0_NEPBS0_NLCA8_NLCB1_ONLL1_OPLV0_PK0_PAP0_PGR1_PLR2_SIA3_SS1_SU32_SUM0_SUS256_SCIUI1_SPO0_SRVW0_SSO0_SVW2_SNLL0_TSGRA0_TSGRB0_TT16_32_TLDS1_UMLDSA0_UMLDSB1_USFGROn1_VAW1_VSn1_VW2_VWB1_VFLRP0_WSGRA0_WSGRB0_WG64_4_1_WGM4
  .amdhsa_user_sgpr_kernarg_segment_ptr 1
  .amdhsa_user_sgpr_kernarg_preload_offset 0
  .amdhsa_user_sgpr_kernarg_preload_length 0
  .amdhsa_user_sgpr_count 2
  .amdhsa_accum_offset 256 // accvgpr offset
  .amdhsa_next_free_vgpr 512 // vgprs
  .amdhsa_next_free_sgpr 65 // sgprs
  .amdhsa_group_segment_fixed_size 7168 // lds bytes
  .amdhsa_private_segment_fixed_size 0
  .amdhsa_system_sgpr_workgroup_id_x 1
  .amdhsa_system_sgpr_workgroup_id_y 1
  .amdhsa_system_sgpr_workgroup_id_z 1
  .amdhsa_system_vgpr_workitem_id 0
  .amdhsa_float_denorm_mode_32 3
  .amdhsa_float_denorm_mode_16_64 3
.end_amdhsa_kernel
.text

/******************************************/
/* Optimizations and Config:              */
/******************************************/
/* ThreadTile= 64 x 2 */
/* SubGroup= 16 x 16 */
/* VectorWidthA=2 */
/* VectorWidthB=1 */
/* GlobalLoadVectorWidthA=2, GlobalLoadVectorWidthB=1 */
/* DirectToLdsA=False */
/* DirectToLdsB=False */
/* UseSgprForGRO=0 */
.amdgpu_metadata
---
amdhsa.version:
  - 1
  - 1
amdhsa.target: amdgcn-amd-amdhsa--gfx90a
amdhsa.kernels:
  - .name: Cijk_Ailk_Bljk_DB_MT1024x32x8_MI16x16x4x1_SN_1LDSB0_APM1_ABV0_ACED0_AF0EM2_AF1EM1_AMAS3_ASE_ASGT_ASLT117_ASEM1_AAC0_BL1_BS1_CLR0_DTVA1_DVO0_ETSP_EPS1_EMLL0_FL0_GLVWA2_GLVWB1_GRPM0p30_GRVW2_GSU1_GSUASB_GLS0_ISA90a_IU1_K1_KLA_LBSPPA0_LBSPPB0_LPA0_LPB4_LDL1_LRVW1_LWPMn1_LDW0_FMA_MIAV0_MO40_MMFGLC_NTA0_NTB0_NTC0_NTD0_NEPBS0_NLCA8_NLCB1_ONLL1_OPLV0_PK0_PAP0_PGR1_PLR2_SIA3_SS1_SU32_SUM0_SUS256_SCIUI1_SPO0_SRVW0_SSO0_SVW2_SNLL0_TSGRA0_TSGRB0_TT16_32_TLDS1_UMLDSA0_UMLDSB1_USFGROn1_VAW1_VSn1_VW2_VWB1_VFLRP0_WSGRA0_WSGRB0_WG64_4_1_WGM4
    .symbol: 'Cijk_Ailk_Bljk_DB_MT1024x32x8_MI16x16x4x1_SN_1LDSB0_APM1_ABV0_ACED0_AF0EM2_AF1EM1_AMAS3_ASE_ASGT_ASLT117_ASEM1_AAC0_BL1_BS1_CLR0_DTVA1_DVO0_ETSP_EPS1_EMLL0_FL0_GLVWA2_GLVWB1_GRPM0p30_GRVW2_GSU1_GSUASB_GLS0_ISA90a_IU1_K1_KLA_LBSPPA0_LBSPPB0_LPA0_LPB4_LDL1_LRVW1_LWPMn1_LDW0_FMA_MIAV0_MO40_MMFGLC_NTA0_NTB0_NTC0_NTD0_NEPBS0_NLCA8_NLCB1_ONLL1_OPLV0_PK0_PAP0_PGR1_PLR2_SIA3_SS1_SU32_SUM0_SUS256_SCIUI1_SPO0_SRVW0_SSO0_SVW2_SNLL0_TSGRA0_TSGRB0_TT16_32_TLDS1_UMLDSA0_UMLDSB1_USFGROn1_VAW1_VSn1_VW2_VWB1_VFLRP0_WSGRA0_WSGRB0_WG64_4_1_WGM4.kd'
    .language:                   OpenCL C
    .language_version:
      - 2
      - 0
    .args:
      - .name:            Tensor2dSizeA
        .size:            8
        .offset:          0
        .value_kind:      by_value
        .value_type:      u64
      - .name:            Tensor2dSizeB
        .size:            8
        .offset:          8
        .value_kind:      by_value
        .value_type:      u64
      - .name:            AddressD
        .size:            8
        .offset:          16
        .value_kind:      by_value
        .value_type:      u64
      - .name:            AddressC
        .size:            8
        .offset:          24
        .value_kind:      by_value
        .value_type:      u64
      - .name:            AddressA
        .size:            8
        .offset:          32
        .value_kind:      by_value
        .value_type:      u64
      - .name:            AddressB
        .size:            8
        .offset:          40
        .value_kind:      by_value
        .value_type:      u64
      - .name:            Alpha
        .size:            8
        .offset:          48
        .value_kind:      by_value
        .value_type:      u64
      - .name:            Beta
        .size:            8
        .offset:          56
        .value_kind:      by_value
        .value_type:      u64
      - .name:            StridesD
        .size:            8
        .offset:          64
        .value_kind:      by_value
        .value_type:      u64
      - .name:            StridesC
        .size:            8
        .offset:          72
        .value_kind:      by_value
        .value_type:      u64
      - .name:            StridesA
        .size:            8
        .offset:          80
        .value_kind:      by_value
        .value_type:      u64
      - .name:            StridesB
        .size:            8
        .offset:          88
        .value_kind:      by_value
        .value_type:      u64
      - .name:            SizesFree
        .size:            12
        .offset:          96
        .value_kind:      by_value
        .value_type:      u96
      - .name:            SizesSum
        .size:            4
        .offset:          108
        .value_kind:      by_value
        .value_type:      u32
      - .name:            OrigStaggerUIter
        .size:            4
        .offset:          112
        .value_kind:      by_value
        .value_type:      u32
      - .name:            NumWorkGroups0
        .size:            4
        .offset:          116
        .value_kind:      by_value
        .value_type:      u32
      - .name:            NumWorkGroups1
        .size:            4
        .offset:          120
        .value_kind:      by_value
        .value_type:      u32
      - .name:            NumFullBlocks
        .size:            4
        .offset:          124
        .value_kind:      by_value
        .value_type:      u32
      - .name:            WgmRemainder1
        .size:            4
        .offset:          128
        .value_kind:      by_value
        .value_type:      u32
      - .name:            MagicNumberWgmRemainder1
        .size:            4
        .offset:          132
        .value_kind:      by_value
        .value_type:      u32
    .group_segment_fixed_size:   7168
    .kernarg_segment_align:      8
    .kernarg_segment_size:       136
    .max_flat_workgroup_size:    256
    .private_segment_fixed_size: 0
    .sgpr_count:                 65
    .sgpr_spill_count:           0
    .vgpr_count:                 256
    .vgpr_spill_count:           0
    .wavefront_size:             64
...
.end_amdgpu_metadata
Cijk_Ailk_Bljk_DB_MT1024x32x8_MI16x16x4x1_SN_1LDSB0_APM1_ABV0_ACED0_AF0EM2_AF1EM1_AMAS3_ASE_ASGT_ASLT117_ASEM1_AAC0_BL1_BS1_CLR0_DTVA1_DVO0_ETSP_EPS1_EMLL0_FL0_GLVWA2_GLVWB1_GRPM0p30_GRVW2_GSU1_GSUASB_GLS0_ISA90a_IU1_K1_KLA_LBSPPA0_LBSPPB0_LPA0_LPB4_LDL1_LRVW1_LWPMn1_LDW0_FMA_MIAV0_MO40_MMFGLC_NTA0_NTB0_NTC0_NTD0_NEPBS0_NLCA8_NLCB1_ONLL1_OPLV0_PK0_PAP0_PGR1_PLR2_SIA3_SS1_SU32_SUM0_SUS256_SCIUI1_SPO0_SRVW0_SSO0_SVW2_SNLL0_TSGRA0_TSGRB0_TT16_32_TLDS1_UMLDSA0_UMLDSB1_USFGROn1_VAW1_VSn1_VW2_VWB1_VFLRP0_WSGRA0_WSGRB0_WG64_4_1_WGM4:

/******************************************/
/* Asm syntax workarounds                 */
/******************************************/
.macro _v_add_co_u32 dst:req, cc:req, src0:req, src1:req, dpp=
   v_add_co_u32 \dst, \cc, \src0, \src1 \dpp
.endm

.macro _v_add_u32 dst:req, src0:req, src1:req, dpp=
   v_add_u32 \dst, \src0, \src1 \dpp
.endm

.macro _v_add_i32 dst:req, src0:req, src1:req, dpp=
   v_add_i32 \dst, \src0, \src1 \dpp
.endm

.macro _v_addc_co_u32 dst:req, ccOut:req, src0:req, ccIn:req, src1:req, dpp=
   v_addc_co_u32 \dst, \ccOut, \src0, \ccIn, \src1 \dpp
.endm

.macro _v_sub_co_u32 dst:req, cc:req, src0:req, src1:req, dpp=
   v_sub_co_u32 \dst, \cc, \src0, \src1 \dpp
.endm

.macro _v_sub_u32 dst:req, src0:req, src1:req, dpp=
   v_sub_u32 \dst, \src0, \src1 \dpp
.endm

.macro _v_sub_i32 dst:req, src0:req, src1:req, dpp=
   v_sub_i32 \dst, \src0, \src1 \dpp
.endm

.macro _v_add_lshl_u32 dst:req, src0:req, src1:req, shiftCnt:req
    v_add_lshl_u32 \dst, \src0, \src1, \shiftCnt
.endm

.macro _v_lshl_add_u32 dst:req, src0:req, src1:req, shiftCnt:req
    v_lshl_add_u32 \dst, \src0, \src1, \shiftCnt
.endm

.macro _v_lshl_or_b32 dst:req, src0:req, shiftCnt:req, src1:req
    v_lshl_or_b32 \dst, \src0, \shiftCnt, \src1
.endm

.macro _v_dot2acc_f32_f16 dst, src0, src1
v_dot2c_f32_f16 \dst, \src0, \src1
.endm

.macro _v_cmpx_lt_i16 dst, src0, src1=
   v_cmpx_lt_i16 \dst, \src0, \src1 
.endm

.macro _v_cmpx_lt_i32 dst, src0, src1=
   v_cmpx_lt_i32 \dst, \src0, \src1 
.endm

.macro _v_cmpx_lt_i64 dst, src0, src1=
   v_cmpx_lt_i64 \dst, \src0, \src1 
.endm

.macro _v_cmpx_lt_u16 dst, src0, src1=
   v_cmpx_lt_u16 \dst, \src0, \src1 
.endm

.macro _v_cmpx_lt_u32 dst, src0, src1=
   v_cmpx_lt_u32 \dst, \src0, \src1 
.endm

.macro _v_cmpx_lt_u64 dst, src0, src1=
   v_cmpx_lt_u64 \dst, \src0, \src1 
.endm

.macro _v_cmpx_eq_i16 dst, src0, src1=
   v_cmpx_eq_i16 \dst, \src0, \src1 
.endm

.macro _v_cmpx_eq_i32 dst, src0, src1=
   v_cmpx_eq_i32 \dst, \src0, \src1 
.endm

.macro _v_cmpx_eq_i64 dst, src0, src1=
   v_cmpx_eq_i64 \dst, \src0, \src1 
.endm

.macro _v_cmpx_eq_u16 dst, src0, src1=
   v_cmpx_eq_u16 \dst, \src0, \src1 
.endm

.macro _v_cmpx_eq_u32 dst, src0, src1=
   v_cmpx_eq_u32 \dst, \src0, \src1 
.endm

.macro _v_cmpx_eq_u64 dst, src0, src1=
   v_cmpx_eq_u64 \dst, \src0, \src1 
.endm

.macro _v_cmpx_le_i16 dst, src0, src1=
   v_cmpx_le_i16 \dst, \src0, \src1 
.endm

.macro _v_cmpx_le_i32 dst, src0, src1=
   v_cmpx_le_i32 \dst, \src0, \src1 
.endm

.macro _v_cmpx_le_i64 dst, src0, src1=
   v_cmpx_le_i64 \dst, \src0, \src1 
.endm

.macro _v_cmpx_le_u16 dst, src0, src1=
   v_cmpx_le_u16 \dst, \src0, \src1 
.endm

.macro _v_cmpx_le_u32 dst, src0, src1=
   v_cmpx_le_u32 \dst, \src0, \src1 
.endm

.macro _v_cmpx_le_u64 dst, src0, src1=
   v_cmpx_le_u64 \dst, \src0, \src1 
.endm

.macro _v_cmpx_gt_i16 dst, src0, src1=
   v_cmpx_gt_i16 \dst, \src0, \src1 
.endm

.macro _v_cmpx_gt_i32 dst, src0, src1=
   v_cmpx_gt_i32 \dst, \src0, \src1 
.endm

.macro _v_cmpx_gt_i64 dst, src0, src1=
   v_cmpx_gt_i64 \dst, \src0, \src1 
.endm

.macro _v_cmpx_gt_u16 dst, src0, src1=
   v_cmpx_gt_u16 \dst, \src0, \src1 
.endm

.macro _v_cmpx_gt_u32 dst, src0, src1=
   v_cmpx_gt_u32 \dst, \src0, \src1 
.endm

.macro _v_cmpx_gt_u64 dst, src0, src1=
   v_cmpx_gt_u64 \dst, \src0, \src1 
.endm

.macro _v_cmpx_ne_i16 dst, src0, src1=
   v_cmpx_ne_i16 \dst, \src0, \src1 
.endm

.macro _v_cmpx_ne_i32 dst, src0, src1=
   v_cmpx_ne_i32 \dst, \src0, \src1 
.endm

.macro _v_cmpx_ne_i64 dst, src0, src1=
   v_cmpx_ne_i64 \dst, \src0, \src1 
.endm

.macro _v_cmpx_ne_u16 dst, src0, src1=
   v_cmpx_ne_u16 \dst, \src0, \src1 
.endm

.macro _v_cmpx_ne_u32 dst, src0, src1=
   v_cmpx_ne_u32 \dst, \src0, \src1 
.endm

.macro _v_cmpx_ne_u64 dst, src0, src1=
   v_cmpx_ne_u64 \dst, \src0, \src1 
.endm

.macro _v_cmpx_lg_i16 dst, src0, src1=
   v_cmpx_lg_i16 \dst, \src0, \src1 
.endm

.macro _v_cmpx_lg_i32 dst, src0, src1=
   v_cmpx_lg_i32 \dst, \src0, \src1 
.endm

.macro _v_cmpx_lg_i64 dst, src0, src1=
   v_cmpx_lg_i64 \dst, \src0, \src1 
.endm

.macro _v_cmpx_lg_u16 dst, src0, src1=
   v_cmpx_lg_u16 \dst, \src0, \src1 
.endm

.macro _v_cmpx_lg_u32 dst, src0, src1=
   v_cmpx_lg_u32 \dst, \src0, \src1 
.endm

.macro _v_cmpx_lg_u64 dst, src0, src1=
   v_cmpx_lg_u64 \dst, \src0, \src1 
.endm

.macro _v_cmpx_ge_i16 dst, src0, src1=
   v_cmpx_ge_i16 \dst, \src0, \src1 
.endm

.macro _v_cmpx_ge_i32 dst, src0, src1=
   v_cmpx_ge_i32 \dst, \src0, \src1 
.endm

.macro _v_cmpx_ge_i64 dst, src0, src1=
   v_cmpx_ge_i64 \dst, \src0, \src1 
.endm

.macro _v_cmpx_ge_u16 dst, src0, src1=
   v_cmpx_ge_u16 \dst, \src0, \src1 
.endm

.macro _v_cmpx_ge_u32 dst, src0, src1=
   v_cmpx_ge_u32 \dst, \src0, \src1 
.endm

.macro _v_cmpx_ge_u64 dst, src0, src1=
   v_cmpx_ge_u64 \dst, \src0, \src1 
.endm

.macro _v_cmpx_o_i16 dst, src0, src1=
   v_cmpx_o_i16 \dst, \src0, \src1 
.endm

.macro _v_cmpx_o_i32 dst, src0, src1=
   v_cmpx_o_i32 \dst, \src0, \src1 
.endm

.macro _v_cmpx_o_i64 dst, src0, src1=
   v_cmpx_o_i64 \dst, \src0, \src1 
.endm

.macro _v_cmpx_o_u16 dst, src0, src1=
   v_cmpx_o_u16 \dst, \src0, \src1 
.endm

.macro _v_cmpx_o_u32 dst, src0, src1=
   v_cmpx_o_u32 \dst, \src0, \src1 
.endm

.macro _v_cmpx_o_u64 dst, src0, src1=
   v_cmpx_o_u64 \dst, \src0, \src1 
.endm

.macro _v_cmpx_u_i16 dst, src0, src1=
   v_cmpx_u_i16 \dst, \src0, \src1 
.endm

.macro _v_cmpx_u_i32 dst, src0, src1=
   v_cmpx_u_i32 \dst, \src0, \src1 
.endm

.macro _v_cmpx_u_i64 dst, src0, src1=
   v_cmpx_u_i64 \dst, \src0, \src1 
.endm

.macro _v_cmpx_u_u16 dst, src0, src1=
   v_cmpx_u_u16 \dst, \src0, \src1 
.endm

.macro _v_cmpx_u_u32 dst, src0, src1=
   v_cmpx_u_u32 \dst, \src0, \src1 
.endm

.macro _v_cmpx_u_u64 dst, src0, src1=
   v_cmpx_u_u64 \dst, \src0, \src1 
.endm
.macro _v_mac_f32 c:req, a:req, b:req
    v_fmac_f32 \c, \a, \b
.endmacro

/* scale global load macros */
.macro _s_load_b32 dst base offset
    s_load_dword \dst \base \offset
.endm

.macro _s_load_b64 dst base offset
    s_load_dwordx2 \dst \base \offset
.endm

.macro _s_load_b128 dst base offset
    s_load_dwordx4 \dst \base \offset
.endm

.macro _s_load_b256 dst base offset
    s_load_dwordx8 \dst \base \offset
.endm

.macro _s_load_b512 dst base offset
    s_load_dwordx16 \dst \base \offset
.endm


/* ds operation macros */
.macro _ds_load_u8 dst src offset
    ds_read_u8 \dst \src \offset
.endm

.macro _ds_load_u8_d16_hi dst src offset
    ds_read_u8_d16_hi \dst \src \offset
.endm

.macro _ds_load_u16 dst src offset
    ds_read_u16 \dst \src \offset
.endm

.macro _ds_load_u16_d16_hi dst src offset
    ds_read_u16_d16_hi \dst \src \offset
.endm

.macro _ds_load_b32 dst src offset
    ds_read_b32 \dst \src \offset
.endm

.macro _ds_load_b64 dst src offset
    ds_read_b64 \dst \src \offset
.endm

.macro _ds_load_b128 dst src offset
    ds_read_b128 \dst \src \offset
.endm

.macro _ds_store_b8 dst src offset
    ds_write_b8 \dst \src \offset
.endm

.macro _ds_store_b8_d16_hi dst src offset
    ds_write_b8_d16_hi \dst \src \offset
.endm

.macro _ds_store_b16 dst src offset
    ds_write_b16 \dst \src \offset
.endm

.macro _ds_store_b16_d16_hi dst src offset
    ds_write_b16_d16_hi \dst \src \offset
.endm

.macro _ds_store_b32 dst src offset
    ds_write_b32 \dst \src \offset
.endm

.macro _ds_store_b64 dst src offset
    ds_write_b64 \dst \src \offset
.endm

.macro _ds_store_b128 dst src offset
    ds_write_b128 \dst \src \offset
.endm

.macro _ds_load2_b32 dst src offset1 offset2
    ds_read2_b32 \dst \src \offset1 \offset2
.endm

.macro _ds_load2_b64 dst src offset1 offset2
    ds_read2_b64 \dst \src \offset1 \offset2
.endm

.macro _ds_store2_b32 dst src offset1 offset2
    ds_write2_b32 \dst \src \offset1 \offset2
.endm

.macro _ds_store2_b64 dst src offset1 offset2
    ds_write2_b64 \dst \src \offset1 \offset2
.endm


/* buffer memory operation macros */
.macro _buffer_load_b32 dst voffset base soffset offen ioffset md0 md1 md2
    buffer_load_dword \dst \voffset \base \soffset \offen \ioffset \md0 \md1 \md2
.endm

.macro _buffer_load_b64 dst voffset base soffset offen ioffset md0 md1 md2
    buffer_load_dwordx2 \dst \voffset \base \soffset \offen \ioffset \md0 \md1 \md2
.endm

.macro _buffer_load_b96 dst voffset base soffset offen ioffset md0 md1 md2
    buffer_load_dwordx3 \dst \voffset \base \soffset \offen \ioffset \md0 \md1 \md2
.endm

.macro _buffer_load_b128 dst voffset base soffset offen ioffset md0 md1 md2
    buffer_load_dwordx4 \dst \voffset \base \soffset \offen \ioffset \md0 \md1 \md2
.endm

.macro _buffer_load_d16_b16 dst voffset base soffset offen ioffset md0 md1 md2
    buffer_load_short_d16 \dst \voffset \base \soffset \offen \ioffset \md0 \md1 \md2
.endm

.macro _buffer_load_d16_hi_b16 dst voffset base soffset offen ioffset md0 md1 md2
    buffer_load_short_d16_hi \dst \voffset \base \soffset \offen \ioffset \md0 \md1 \md2
.endm

.macro _buffer_load_d16_u8 dst voffset base soffset offen ioffset md0 md1 md2
    buffer_load_ubyte_d16 \dst \voffset \base \soffset \offen \ioffset \md0 \md1 \md2
.endm

.macro _buffer_load_d16_hi_u8 dst voffset base soffset offen ioffset md0 md1 md2
    buffer_load_ubyte_d16_hi \dst \voffset \base \soffset \offen \ioffset \md0 \md1 \md2
.endm

.macro _buffer_load_u16 dst voffset base soffset offen ioffset md0 md1 md2
    buffer_load_ushort \dst \voffset \base \soffset \offen \ioffset \md0 \md1 \md2
.endm

.macro _buffer_load_b32_dtl voffset base soffset offen ioffset md0 md1 md2
    buffer_load_dword \voffset \base \soffset \offen \ioffset \md0 \md1 \md2
.endm

.macro _buffer_load_b64_dtl voffset base soffset offen ioffset md0 md1 md2
    buffer_load_dwordx2 \voffset \base \soffset \offen \ioffset \md0 \md1 \md2
.endm

.macro _buffer_load_b128_dtl voffset base soffset offen ioffset md0 md1 md2
    buffer_load_dwordx4 \voffset \base \soffset \offen \ioffset \md0 \md1 \md2
.endm

.macro _buffer_load_u16_dtl voffset base soffset offen ioffset md0 md1 md2
    buffer_load_ushort \voffset \base \soffset \offen \ioffset \md0 \md1 \md2
.endm

.macro _buffer_store_b32 src voffset base soffset offen ioffset md0 md1 md2
    buffer_store_dword \src \voffset \base \soffset \offen \ioffset \md0 \md1 \md2
.endm

.macro _buffer_store_b64 src voffset base soffset offen ioffset md0 md1 md2
    buffer_store_dwordx2 \src \voffset \base \soffset \offen \ioffset \md0 \md1 \md2
.endm

.macro _buffer_store_b96 src voffset base soffset offen ioffset md0 md1 md2
    buffer_store_dwordx3 \src \voffset \base \soffset \offen \ioffset \md0 \md1 \md2
.endm

.macro _buffer_store_b128 src voffset base soffset offen ioffset md0 md1 md2
    buffer_store_dwordx4 \src \voffset \base \soffset \offen \ioffset \md0 \md1 \md2
.endm

.macro _buffer_store_b16 src voffset base soffset offen ioffset md0 md1 md2
    buffer_store_short \src \voffset \base \soffset \offen \ioffset \md0 \md1 \md2
.endm

.macro _buffer_store_d16_hi_b16 src voffset base soffset offen ioffset md0 md1 md2
    buffer_store_short_d16_hi \src \voffset \base \soffset \offen \ioffset \md0 \md1 \md2
.endm

.macro _buffer_store_b8 src voffset base soffset offen ioffset md0 md1 md2
    buffer_store_byte \src \voffset \base \soffset \offen \ioffset \md0 \md1 \md2
.endm

.macro _buffer_store_d16_hi_b8 src voffset base soffset offen ioffset md0 md1 md2
    buffer_store_byte_d16_hi \src \voffset \base \soffset \offen \ioffset \md0 \md1 \md2
.endm

.macro _buffer_atomic_cmpswap_b32 dst voffset base soffset offen ioffset md0 md1 md2
    buffer_atomic_cmpswap \dst \voffset \base \soffset \offen \ioffset \md0 \md1 \md2
.endm

.macro _buffer_atomic_cmpswap_b64 dst voffset base soffset offen ioffset md0 md1 md2
    buffer_atomic_cmpswap_x2 \dst \voffset \base \soffset \offen \ioffset \md0 \md1 \md2
.endm


/* buffer memory operation macros */
.macro _global_load_b32 dst base src ioffset md0 md1 md2
    global_load_dword \dst \base \src \ioffset \md0 \md1 \md2
.endm

.macro _global_load_b64 dst base src ioffset md0 md1 md2
    global_load_dwordx2 \dst \base \src \ioffset \md0 \md1 \md2
.endm

.macro _global_load_b96 dst base src ioffset md0 md1 md2
    global_load_dwordx3 \dst \base \src \ioffset \md0 \md1 \md2
.endm

.macro _global_load_b128 dst base src ioffset md0 md1 md2
    global_load_dwordx4 \dst \base \src \ioffset \md0 \md1 \md2
.endm

.macro _global_load_d16_b16 dst base src ioffset md0 md1 md2
    global_load_short_d16 \dst \base \src \ioffset \md0 \md1 \md2
.endm

.macro _global_load_d16_hi_b16 dst base src ioffset md0 md1 md2
    global_load_short_d16_hi \dst \base \src \ioffset \md0 \md1 \md2
.endm

.macro _global_load_d16_u8 dst base src ioffset md0 md1 md2
    global_load_ubyte_d16 \dst \base \src \ioffset \md0 \md1 \md2
.endm

.macro _global_load_d16_hi_u8 dst base src ioffset md0 md1 md2
    global_load_ubyte_d16_hi \dst \base \src \ioffset \md0 \md1 \md2
.endm

.macro _global_load_u16 dst base src ioffset md0 md1 md2
    global_load_ushort \dst \base \src \ioffset \md0 \md1 \md2
.endm

.macro _global_store_b32 base src src2 md0 md1 md2
    global_store_dword \base \src \src2 \md0 \md1 \md2
.endm

.macro _global_store_b64 base src src2 md0 md1 md2
    global_store_dwordx2 \base \src \src2 \md0 \md1 \md2
.endm

.macro _global_store_b96 base src src2 md0 md1 md2
    global_store_dwordx3 \base \src \src2 \md0 \md1 \md2
.endm

.macro _global_store_b128 base src src2 md0 md1 md2
    global_store_dwordx4 \base \src \src2 \md0 \md1 \md2
.endm

.macro _global_store_d16_b16 base src src2 md0 md1 md2
    global_store_short \base \src \src2 \md0 \md1 \md2
.endm

.macro _global_store_d16_hi_b16 base src src2 md0 md1 md2
    global_store_short_d16_hi \base \src \src2 \md0 \md1 \md2
.endm

.macro _global_store_d16_u8 base src src2 md0 md1 md2
    global_store_ubyte_d16 \base \src \src2 \md0 \md1 \md2
.endm

.macro _global_store_d16_hi_u8 base src src2 md0 md1 md2
    global_store_ubyte_d16_hi \base \src \src2 \md0 \md1 \md2
.endm

.macro _global_store_u16 base src src2 md0 md1 md2
    global_store_ushort \base \src \src2 \md0 \md1 \md2
.endm

.macro _global_atomic_cmpswap_b32 tmp base data src ioffset md
    global_atomic_cmpswap \tmp \base \data \src \ioffset \md
.endm

.macro _global_atomic_cmpswap_b64 tmp base data src ioffset md
    global_atomic_cmpswap_x2 \tmp \base \data \src \ioffset \md
.endm


/******************************************/
/* Magic div and mod functions            */
/******************************************/
.macro V_MAGIC_DIV dstIdx:req, dividend:req, magicNumber:req, magicShift:req, magicA:req
    v_mul_hi_u32 v[\dstIdx+1], \dividend, \magicNumber
    v_mul_lo_u32 v[\dstIdx+0], \dividend, \magicA
    _v_add_u32 v[\dstIdx+0], v[\dstIdx+0], v[\dstIdx+1]
    v_lshrrev_b32 v[\dstIdx+0], \magicShift, v[\dstIdx+0]
.endm

/******************************************/
/* VGPR Assignments                       */
/******************************************/
/* ValuC range: [0-0), serializedStore enabled */
.set vgprValuC, 0
/* ValuA/B   Xn=PLR buffer idx,  In=InnerUnroll idx */
.set vgprG2LA, 26
.set vgprG2LA0, 26
.set vgprG2LA1, 90
.set vgprValuB_X0_I0, 0
.set vgprValuB_X1_I0, 4
.set vgprG2LB, 154
.set vgprLocalWriteAddrB, 8
.set vgprGlobalReadOffsetA, 9
.set vgprGlobalReadOffsetB, 25
.set vgprLocalReadAddrB, 156
.set vgprSerial, 157
/* Num VGPR=256 */
/* Num AccVGPR=256 */

/******************************************/
/* SGPR Assignments                       */
/******************************************/
.set sgprKernArgAddress, 0 // (2)
.set sgprWorkGroup0, 2 // (1)
.set sgprWorkGroup1, 3 // (1)
.set sgprWorkGroup2, 4 // (1)
.set sgprLoopCounterL, 5 // (1)
.set sgprOrigLoopCounter, 6 // (1)
.set sgprSrdA, 8 // (4)
.set sgprSrdB, 12 // (4)
.set sgprSrdD, 16 // (4)
.set sgprSrdC, 20 // (4)
.set sgprTensor2dSizeA, 24 // (2)
.set sgprTensor2dSizeB, 26 // (2)
.set sgprAddressD, 28 // (2)
.set sgprAddressC, 30 // (2)
.set sgprAddressA, 32 // (2)
.set sgprAddressB, 34 // (2)
.set sgprAlpha, 36 // (2)
.set sgprBeta, 38 // (2)
.set sgprStridesD, 40 // (2)
.set sgprStridesC, 42 // (2)
.set sgprStridesA, 44 // (2)
.set sgprStridesB, 46 // (2)
.set sgprSizesFree, 48 // (3)
.set sgprSizesSum, 51 // (1)
.set sgprOrigStaggerUIter, 52 // (1)
.set sgprNumWorkGroups0, 53 // (1)
.set sgprNumWorkGroups1, 54 // (1)
.set sgprNumFullBlocks, 55 // (1)
.set sgprWgmRemainder1, 56 // (1)
.set sgprMagicNumberWgmRemainder1, 57 // (1)
.set sgprShadowLimitA, 0 // (2)
.set sgprShadowLimitB, 28 // (2)
.set sgprStaggerUIter, 7 // (1)
.set sgprWrapUA, 30 // (2)
.set sgprWrapUB, 32 // (2)
.set sgprGlobalReadIncsA, 34 // (1)
.set sgprGlobalReadIncsB, 35 // (1)
/* max SGPR=65 */

/* Size Assignments */
.set sgprSizeI, sgprSizesFree+0
.set sgprSizeJ, sgprSizesFree+1
.set sgprSizeK, sgprSizesFree+2
.set sgprSizeL, sgprSizesSum+0

/* Stride Assignments */
.set constStrideD0I, 1
.set sgprStrideD1J, sgprStridesD+0
.set sgprStrideDK, sgprStridesD+1
.set constStrideC0I, 1
.set sgprStrideC1J, sgprStridesC+0
.set sgprStrideCK, sgprStridesC+1
.set constStrideA0I, 1
.set sgprStrideAL, sgprStridesA+0
.set sgprStrideAK, sgprStridesA+1
.set constStrideBL, 1
.set sgprStrideB1J, sgprStridesB+0
.set sgprStrideBK, sgprStridesB+1

.set MT0, 1024
.set MT1, 32
.set DepthU, 8
.set GSU, 1
.set BpeA, 8
.set BpeALog2, 3
.set BpeB, 8
.set BpeBLog2, 3
/* Number of elements to shift-left SRD */
.set SrdShiftLeftA, 2
.set SrdShiftLeftB, 1
/* 2GB limit - set offsets to -1 to exceed this and clamp */
.set BufferLimitA, 0xffffffff
.set BufferLimitB, 0xffffffff
.set BufferOOB, 0xfffff000

/******************************************/
/* Bits 127:96 of SRD.                    */
/* hex: 0x00020000                        */
/* dst_sel_x (3b): 0                      */
/* dst_sel_y (3b): 0                      */
/* dst_sel_z (3b): 0                      */
/* dst_sel_w (3b): 0                      */
/* num_format (3b): 0                     */
/* data_format (4b): 4                    */
/* user_vm_enable (1b): 0                 */
/* user_vm_mode (1b): 0                   */
/* index_stride (2b): 0                   */
/* add_tid_enable (1b): 0                 */
/* _unusedA (3b): 0                       */
/* nv (1b): 0                             */
/* _unusedB (2b): 0                       */
/* type (2b): 0                           */
/******************************************/
.set Srd127_96, 0x00020000

/* Global Offset A */
.macro GLOBAL_OFFSET_A vgprAddr:req vgprOffset0I:req vgprOffsetL:req vgprTmp:req
v_mul_lo_u32 v[\vgprTmp+0], s[sgprStrideAL], v[\vgprOffsetL] // mul d1 lower
_v_add_co_u32 v[\vgprAddr+0], vcc, v[\vgprOffset0I], v[\vgprTmp+0] // accumulate K lower
_v_add_u32 v[\vgprAddr+0], 0x2, v[\vgprAddr+0]     // add prepad for pointer shift
v_lshlrev_b32 v[\vgprAddr+0], 0x3, v[\vgprAddr+0]  // offset *= bytes/element
.endm

/* Global Offset B */
.macro GLOBAL_OFFSET_B vgprAddr:req vgprOffsetL:req vgprOffset1J:req vgprTmp:req
v_mul_lo_u32 v[\vgprTmp+0], s[sgprStrideB1J], v[\vgprOffset1J] // mul d1 lower
_v_add_co_u32 v[\vgprAddr+0], vcc, v[\vgprOffsetL], v[\vgprTmp+0] // accumulate K lower
_v_add_u32 v[\vgprAddr+0], 0x1, v[\vgprAddr+0]     // add prepad for pointer shift
v_lshlrev_b32 v[\vgprAddr+0], 0x3, v[\vgprAddr+0]  // offset *= bytes/element
.endm

/******************************************/
/* Dynamic Scalar Divide: vQuotient=vDividend/vDivisor; vRemainder=vDividend%vDivisor; */
/******************************************/
.macro DYNAMIC_VECTOR_DIVIDE vQuotient vRemainder vDividend vDivisor vTmp0 vTmp1 sTmp
v_cvt_f32_u32 v[\vQuotient], v[\vDivisor]          // 
v_rcp_f32 v[\vQuotient], v[\vQuotient]             // 
v_mul_f32 v[\vQuotient], 0x4f800000, v[\vQuotient] // 
v_cvt_u32_f32 v[\vQuotient], v[\vQuotient]         // 
v_mul_lo_u32 v[\vRemainder], v[\vDivisor], v[\vQuotient] // 
v_mul_hi_u32 v[\vTmp0], v[\vDivisor], v[\vQuotient] // 
_v_sub_co_u32 v[\vTmp1], vcc, 0x0, v[\vRemainder]  // 
v_cmp_ne_i32 s[\sTmp:\sTmp+1], 0x0, v[\vTmp0]      // 
v_cndmask_b32 v[\vRemainder], v[\vTmp1], v[\vRemainder], s[\sTmp:\sTmp+1] // 
v_mul_hi_u32 v[\vRemainder], v[\vRemainder], v[\vQuotient] // 
_v_sub_co_u32 v[\vTmp0], vcc, v[\vQuotient], v[\vRemainder] // 
_v_add_co_u32 v[\vQuotient], vcc, v[\vQuotient], v[\vRemainder] // 
v_cndmask_b32 v[\vQuotient], v[\vQuotient], v[\vTmp0], s[\sTmp:\sTmp+1] // 
v_mul_hi_u32 v[\vQuotient], v[\vQuotient], v[\vDividend] // 
v_mul_lo_u32 v[\vRemainder], v[\vQuotient], v[\vDivisor] // 
_v_sub_co_u32 v[\vTmp0], vcc, v[\vDividend], v[\vRemainder] // 
v_cmp_ge_u32 s[\sTmp:\sTmp+1], v[\vDividend], v[\vRemainder] // 
_v_add_co_u32 v[\vRemainder], vcc, 0x1, v[\vQuotient] // 
_v_add_co_u32 v[\vTmp1], vcc, -1, v[\vQuotient]    // 
v_cmp_le_u32 vcc, v[\vDivisor], v[\vTmp0]          // 
s_and_b64 vcc, s[\sTmp:\sTmp+1], vcc               // 
v_cndmask_b32 v[\vQuotient], v[\vQuotient], v[\vRemainder], vcc // 
v_cndmask_b32 v[\vQuotient], v[\vTmp1], v[\vQuotient], s[\sTmp:\sTmp+1] // 
v_cmp_ne_i32 vcc, 0x0, v[\vDivisor]                // 
v_cndmask_b32 v[\vQuotient], -1, v[\vQuotient], vcc // final result
v_mul_lo_u32 v[\vRemainder], v[\vQuotient], v[\vDivisor] // 
_v_sub_co_u32 v[\vRemainder], vcc, v[\vDividend], v[\vRemainder] // final result
.endm


	;; [unrolled: 1-line block ×3, first 2 shown]
/******************************************/
/* Allocate Resources                     */
/******************************************/

Cijk_Ailk_Bljk_DB_MT1024x32x8_MI16x16x4x1_SN_1LDSB0_APM1_ABV0_ACED0_AF0EM2_AF1EM1_AMAS3_ASE_ASGT_ASLT117_ASEM1_AAC0_BL1_BS1_CLR0_DTVA1_DVO0_ETSP_EPS1_EMLL0_FL0_GLVWA2_GLVWB1_GRPM0p30_GRVW2_GSU1_GSUASB_GLS0_ISA90a_IU1_K1_KLA_LBSPPA0_LBSPPB0_LPA0_LPB4_LDL1_LRVW1_LWPMn1_LDW0_FMA_MIAV0_MO40_MMFGLC_NTA0_NTB0_NTC0_NTD0_NEPBS0_NLCA8_NLCB1_ONLL1_OPLV0_PK0_PAP0_PGR1_PLR2_SIA3_SS1_SU32_SUM0_SUS256_SCIUI1_SPO0_SRVW0_SSO0_SVW2_SNLL0_TSGRA0_TSGRB0_TT16_32_TLDS1_UMLDSA0_UMLDSB1_USFGROn1_VAW1_VSn1_VW2_VWB1_VFLRP0_WSGRA0_WSGRB0_WG64_4_1_WGM4_preloaded: // Kernel start when preloading

/* Load Kernel Args */
_s_load_b512 s[24:39], s[sgprKernArgAddress:sgprKernArgAddress+1], 0x0 // 
_s_load_b512 s[40:55], s[sgprKernArgAddress:sgprKernArgAddress+1], 0x40 // 
_s_load_b64 s[56:57], s[sgprKernArgAddress:sgprKernArgAddress+1], 0x80 // 
s_mov_b32 m0, 0x1c00                               // LDS clamp at 7168 bytes
v_mov_b32 v[vgprSerial], v0                        // thread serial id

/******************************************/
/* Local Read Addresses                   */
/******************************************/


/* local read addresses: tile assignments a/b */

/*lr1J*/
v_and_b32 v1, 63, v[vgprSerial]                    // 0. thread id in wave: wtid = tid % wavelength(64)
v_and_b32 v0, 15, v1                               // 1. N offset: nIdx = wtid % MI_N(16)
s_mov_b32 s7, 0xc                                  // 1. N offset: nOffset = nIdx * nStride(12)
v_mul_lo_u32 v0, s7, v0                            // 1. N offset: nOffset = nIdx * nStride(12)
                                                   // 2. block offset: bnIdx = bnIdx % num1DBlocks(1) is 0. do nothing
                                                   // 4. apply VectorWidth: bnOffset = bnOffset * vw(1) (multiplier is 1, do nothing)
v_lshrrev_b32 v1, 4, v1                            // 5. K offset: kIdx = wtid / (MIN(16) * MIBB(1))
                                                   // 5. K offset: lrKOffset = kIdx * mStride(1) (multiplier is 1, do nothing)
_v_add_u32 v0, v1, v0                              // 6. offset in wave: lrOffset = bnOffset + lrKOffset


/* local read addresses: final offsets a */


	;; [unrolled: 1-line block ×3, first 2 shown]
/* local read addresses: final offsets b */

v_lshlrev_b32 v[vgprLocalReadAddrB], 0x3, v0       // Final Offset: offset = (lro1)*bpe


/* local read addresses: declare addresses a */

/* N/A */


/* local read addresses: declare addresses b */


	;; [unrolled: 1-line block ×3, first 2 shown]
/* global read addresses: tile offset assignment a */

/* LVCA = 64 */
/* v0 = (local)groA-tile = serial%LVCA (note (wgA*MTA) will be added to SRD) */
/* v1 = groA-unroll = serial/LVCA */
v_and_b32 v1, 63, v[vgprSerial]                    // 0. thread id in wave: wtid = tid % wavelength(64)
v_and_b32 v0, 15, v1                               // 1. N offset: nIdx = wtid % MI_N(16)
                                                   // 1. N offset: nOffset = nIdx * nStride(1) (multiplier is 1, do nothing)
                                                   // 2. block offset: bnIdx = bnIdx % num1DBlocks(1) is 0. do nothing
                                                   // 4. apply VectorWidth: bnOffset = bnOffset * vw(1) (multiplier is 1, do nothing)
v_lshrrev_b32 v1, 4, v1                            // 5. K offset: kIdx = wtid / (MIN(16) * MIBB(1))
v_lshrrev_b32 v3, 6, v[vgprSerial]                 // v3 = v[vgprSerial] / 64
v_and_b32 v2, 3, v3                                // v2 = v3 % 4
v_lshlrev_b32 v2, 0x4, v2                          // v2 = v2 * 16
_v_add_u32 v0, v2, v0                              // 
                                                   // v1 = v1 * 1 (multiplier is 1, do nothing)
/* gro-tile *= glvw */
v_lshlrev_b32 v0, 0x1, v0                          // v0 = v0 * 2


/* global read addresses: tile offset assignment b */

/* LVCB = 8 */
/* v2 = (local)groB-tile = serial/LVCB (note (wgB*MTB) will be added to SRD) */
/* v3 = groB-unroll = serial%LVCB */
v_lshrrev_b32 v2, 3, v[vgprSerial]                 // v2 = v[vgprSerial] / 8
v_and_b32 v3, 7, v[vgprSerial]                     // v3 = v[vgprSerial] % 8
/* gro-unroll *= glvw */
                                                   // v3 = v3 * 1 (multiplier is 1, do nothing)


/******************************************/
/* Local Write Addresses                  */
/******************************************/

/* lwaTileAssignmentA = v0 */

/* lwaTileAssignmentB = v2 */

/* lwaUnrollAssignmentA = v1 */

/* lwaUnrollAssignmentB = v3 */


/* local write addresses: first offset a */


	;; [unrolled: 1-line block ×3, first 2 shown]
/* local write addresses: first offset b */

v_mul_u32_u24 v[vgprLocalWriteAddrB], 0xc, v2      // lwBL**(DepthU_Compute + PAD)
_v_add_lshl_u32 v[vgprLocalWriteAddrB], v3, v[vgprLocalWriteAddrB], 0x3 // lwFOB = (lwBB + lwBL*(DepthU+PAD))*bpe


	;; [unrolled: 1-line block ×7, first 2 shown]
s_waitcnt lgkmcnt(0)                               // wait for 136 bytes of kern args
s_mov_b64 s[sgprSrdC+0:sgprSrdC+0+1], s[sgprAddressC+0:sgprAddressC+0+1] // copy addressC
s_mov_b64 s[sgprSrdD+0:sgprSrdD+0+1], s[sgprAddressD+0:sgprAddressD+0+1] // copy addressD
s_sub_u32 s[sgprSrdA+0], s[sgprAddressA+0], 16     // pre-pad to make room for possible pointer shift
s_subb_u32 s[sgprSrdA+1], s[sgprAddressA+1], 0     // pre-pad to make room for possible pointer shift
s_sub_u32 s[sgprSrdB+0], s[sgprAddressB+0], 8      // pre-pad to make room for possible pointer shift
s_subb_u32 s[sgprSrdB+1], s[sgprAddressB+1], 0     // pre-pad to make room for possible pointer shift

.set AddressD, UNDEF
.set AddressC, UNDEF
.set AddressA, UNDEF
.set AddressB, UNDEF

/* Short circuit condition if Alpha == 0, then sumDims=0 */
v_cmp_eq_f64 vcc, s[sgprAlpha:sgprAlpha+1], 0.0    // Alpha == 0.0 ?
s_cbranch_vccz label_AlphaNonZero                  // branch if Alpha != 0
s_mov_b32 s[sgprSizesSum+0], 0x0                   // Set summation dim=0 if Alpha == 0
label_AlphaNonZero:


	;; [unrolled: 1-line block ×3, first 2 shown]
/******************************************/
/* Begin setupNewTile, isPap=False           */
/******************************************/


/* global read addresses: work-group */

/* graWorkGroup mapping */
s_mov_b32 s63, 0x20000001L                         // magic number for WGM==4
s_mul_hi_u32 s61, s[sgprWorkGroup1], s63           // s_magic mul
s_mul_i32 s60, s[sgprWorkGroup1], s63              // s_magic mul
s_lshr_b64 s[60:61], s[60:61], 31                  // sMagicDiv
s_mul_i32 s61, s60, 4                              // quotient * non-magic divisor
s_sub_u32 s61, s[sgprWorkGroup1], s61              // WorkGroup1=remainder
s_mul_i32 s61, s61, s[sgprNumWorkGroups0]          // (wg1 % WGM)*nwg0
s_add_u32 s61, s61, s[sgprWorkGroup0]              // wgSerial = wg0 + (wg1 % WGM)*nwg1
s_cmp_ge_u32 s60, s[sgprNumFullBlocks]             // blockId >= numFullBlocks ?
s_cmov_b32 s63, s[sgprMagicNumberWgmRemainder1]    // 
s_cselect_b32 s62, s[sgprWgmRemainder1], 4         // 
s_mul_hi_u32 s3, s61, s63                          // s_magic mul
s_mul_i32 s2, s61, s63                             // s_magic mul
s_lshr_b64 s[2:3], s[2:3], 31                      // sMagicDiv
s_mul_i32 s[sgprWorkGroup1], s[sgprWorkGroup0], s62 // quotient * non-magic divisor
s_sub_u32 s[sgprWorkGroup1], s61, s[sgprWorkGroup1] // WorkGroup1=remainder
s_mul_i32 s60, s60, 4                              // blockId * WGM
s_add_u32 s[sgprWorkGroup1], s[sgprWorkGroup1], s60 // wg1 += blockId * WGM


/* global read addresses: unroll assignment a */

/* v1 */


/* global read addresses: unroll assignment b */

/* v3 */


/* global read addresses: other free assignments */

/* s[sgprWorkGroup2] */


/* global read addresses: tile offsets a */

v_mov_b32 v158, v0                                 // groA0I_0
_v_add_co_u32 v159, vcc, 128, v158                 // groA0I_1 += LSCA
_v_add_co_u32 v160, vcc, 128, v159                 // groA0I_2 += LSCA
_v_add_co_u32 v161, vcc, 128, v160                 // groA0I_3 += LSCA
_v_add_co_u32 v162, vcc, 128, v161                 // groA0I_4 += LSCA
_v_add_co_u32 v163, vcc, 128, v162                 // groA0I_5 += LSCA
_v_add_co_u32 v164, vcc, 128, v163                 // groA0I_6 += LSCA
_v_add_co_u32 v165, vcc, 128, v164                 // groA0I_7 += LSCA


/* global read addresses: tile offsets b */

v_mov_b32 v4, v2                                   // groB1J_0


/* global read addresses: unroll offsets a */

v_mov_b32 v5, v1                                   // groAL_0
_v_add_co_u32 v6, vcc, 4, v5                       // groAL_1 + LSPA


/* global read addresses: unroll offsets b */

v_mov_b32 v7, v3                                   // groBL_0


/* global read addresses: final offsets a */

GLOBAL_OFFSET_A vgprGlobalReadOffsetA+0, 158,  5, 166 // gROA_0_0_0_0
GLOBAL_OFFSET_A vgprGlobalReadOffsetA+1, 159,  5, 166 // gROA_1_0_0_0
GLOBAL_OFFSET_A vgprGlobalReadOffsetA+2, 160,  5, 166 // gROA_2_0_0_0
GLOBAL_OFFSET_A vgprGlobalReadOffsetA+3, 161,  5, 166 // gROA_3_0_0_0
GLOBAL_OFFSET_A vgprGlobalReadOffsetA+4, 162,  5, 166 // gROA_4_0_0_0
GLOBAL_OFFSET_A vgprGlobalReadOffsetA+5, 163,  5, 166 // gROA_5_0_0_0
GLOBAL_OFFSET_A vgprGlobalReadOffsetA+6, 164,  5, 166 // gROA_6_0_0_0
GLOBAL_OFFSET_A vgprGlobalReadOffsetA+7, 165,  5, 166 // gROA_7_0_0_0
GLOBAL_OFFSET_A vgprGlobalReadOffsetA+8, 158,  6, 166 // gROA_0_0_1_0
GLOBAL_OFFSET_A vgprGlobalReadOffsetA+9, 159,  6, 166 // gROA_1_0_1_0
GLOBAL_OFFSET_A vgprGlobalReadOffsetA+10, 160,  6, 166 // gROA_2_0_1_0
GLOBAL_OFFSET_A vgprGlobalReadOffsetA+11, 161,  6, 166 // gROA_3_0_1_0
GLOBAL_OFFSET_A vgprGlobalReadOffsetA+12, 162,  6, 166 // gROA_4_0_1_0
GLOBAL_OFFSET_A vgprGlobalReadOffsetA+13, 163,  6, 166 // gROA_5_0_1_0
GLOBAL_OFFSET_A vgprGlobalReadOffsetA+14, 164,  6, 166 // gROA_6_0_1_0
GLOBAL_OFFSET_A vgprGlobalReadOffsetA+15, 165,  6, 166 // gROA_7_0_1_0


/* global read addresses: final offsets b */

GLOBAL_OFFSET_B vgprGlobalReadOffsetB+0,  7,  4, 158 // gROB_0_0_0_0


/* global read addresses: addresses a */

/* max read offset = size[n] * stride[n-1] */
s_mul_hi_u32 s63, s[sgprWorkGroup0], 1024          // WorkGroup[01] * MT
s_mul_i32 s62, s[sgprWorkGroup0], 1024             // WorkGroup[01] * MT
s_sub_u32 s[sgprShadowLimitA+0], s[sgprTensor2dSizeA], s62 // sub tileStart
s_subb_u32 s[sgprShadowLimitA+1], s[sgprTensor2dSizeA+1], s63 // sub tileStart
s_lshl_b64 s[sgprShadowLimitA:sgprShadowLimitA+1], s[sgprShadowLimitA:sgprShadowLimitA+1], 0x3 // Set limit to use bytes
s_add_u32 s[sgprShadowLimitA+0], s[sgprShadowLimitA+0], 16 // extend limit for pre-pad
s_addc_u32 s[sgprShadowLimitA+1], s[sgprShadowLimitA+1], 0 // extend limit for pre-pad
s_cmp_eq_u32 s[sgprShadowLimitA+1], 0              // are we within 2^32?
s_cselect_b32 s[sgprSrdA+2], s[sgprShadowLimitA+0], BufferLimitA // Move shadow to real if we are within 2^32
s_mul_hi_u32 s61, s[sgprStrideAK], s[sgprWorkGroup2] // Stride*WG
s_mul_i32 s60, s[sgprStrideAK], s[sgprWorkGroup2]  // Stride*WG
s_add_u32 s62, s62, s60                            // accum wg term to tilestart
s_addc_u32 s63, s63, s61                           // accum wg term to tilestart
s_lshl_b64 s[62:63], s[62:63], 0x3                 // tileStart *= BPE
s_add_u32 s[sgprSrdA+0], s[sgprSrdA+0], s62        // SRD base = Address+ tileStart0
s_addc_u32 s[sgprSrdA+1], s[sgprSrdA+1], s63       // SRD base = Address+ tileStart1
s_mov_b32 s[sgprSrdA+3], Srd127_96                 // Set bits 127_96 in SRD


/* global read addresses: addresses b */

/* max read offset = size[n] * stride[n-1] */
s_mul_hi_u32 s63, s[sgprWorkGroup1], 32            // WorkGroup[01] * MT
s_mul_i32 s62, s[sgprWorkGroup1], 32               // WorkGroup[01] * MT
s_mul_hi_u32 s63, s62, s[sgprStrideB1J]            // tlu=0, scaled tile-offset by stride
s_mul_i32 s62, s62, s[sgprStrideB1J]               // tlu=0, scaled tile-offset by stride
s_sub_u32 s[sgprShadowLimitB+0], s[sgprTensor2dSizeB], s62 // sub tileStart
s_subb_u32 s[sgprShadowLimitB+1], s[sgprTensor2dSizeB+1], s63 // sub tileStart
s_lshl_b64 s[sgprShadowLimitB:sgprShadowLimitB+1], s[sgprShadowLimitB:sgprShadowLimitB+1], 0x3 // Set limit to use bytes
s_add_u32 s[sgprShadowLimitB+0], s[sgprShadowLimitB+0], 8 // extend limit for pre-pad
s_addc_u32 s[sgprShadowLimitB+1], s[sgprShadowLimitB+1], 0 // extend limit for pre-pad
s_cmp_eq_u32 s[sgprShadowLimitB+1], 0              // are we within 2^32?
s_cselect_b32 s[sgprSrdB+2], s[sgprShadowLimitB+0], BufferLimitB // Move shadow to real if we are within 2^32
s_mul_hi_u32 s61, s[sgprStrideBK], s[sgprWorkGroup2] // Stride*WG
s_mul_i32 s60, s[sgprStrideBK], s[sgprWorkGroup2]  // Stride*WG
s_add_u32 s62, s62, s60                            // accum wg term to tilestart
s_addc_u32 s63, s63, s61                           // accum wg term to tilestart
s_lshl_b64 s[62:63], s[62:63], 0x3                 // tileStart *= BPE
s_add_u32 s[sgprSrdB+0], s[sgprSrdB+0], s62        // SRD base = Address+ tileStart0
s_addc_u32 s[sgprSrdB+1], s[sgprSrdB+1], s63       // SRD base = Address+ tileStart1
s_mov_b32 s[sgprSrdB+3], Srd127_96                 // Set bits 127_96 in SRD


/* global read addresses: increments a */

s_mul_i32 s[sgprGlobalReadIncsA+0], DepthU*BpeA, s[sgprStrideAL] // incrA unrollIdx)


/* global read addresses: increments b */

s_mov_b32 s[sgprGlobalReadIncsB+0], DepthU*BpeB    // incrB (unrollIdx)

/* declare loop num iterations */


s_lshr_b32 s[sgprLoopCounterL], s[sgprSizesSum+0], 3 // s[sgprLoopCounterL] = s[sgprSizesSum+0] / 8
s_mov_b32 s[sgprOrigLoopCounter], s[sgprLoopCounterL] // copy loop counter

s_and_b32 s[sgprStaggerUIter], s[sgprOrigStaggerUIter], s[sgprWorkGroup0] // Compute actual stagger start for this tile
s_lshl_b32 s[sgprStaggerUIter], s[sgprStaggerUIter], 2 // shift by StaggerUStride


/* SRDs += (StaggerUIter) * GlobalReadIncsA+0 */
s_mul_hi_u32 s61, s[sgprStaggerUIter], s[sgprGlobalReadIncsA+0] //  stagger byte offset
s_mul_i32 s60, s[sgprStaggerUIter], s[sgprGlobalReadIncsA+0] //  stagger byte offset
s_mul_hi_u32 s[sgprWrapUA+1], s[sgprLoopCounterL], s[sgprGlobalReadIncsA+0] // Number of bytes accessed by the unroll loop
s_mul_i32 s[sgprWrapUA+0], s[sgprLoopCounterL], s[sgprGlobalReadIncsA+0] // Number of bytes accessed by the unroll loop
s_sub_u32 s[sgprWrapUA+0], s[sgprGlobalReadIncsA+0], s[sgprWrapUA+0] // remove one iteration
s_subb_u32 s[sgprWrapUA+1], 0, s[sgprWrapUA+1]     // remove one iteration
s_add_u32 s[sgprSrdA+0], s[sgprSrdA+0], s60        // gra SRD += inc(lower)
s_addc_u32  s[sgprSrdA+1], s[sgprSrdA+1], s61      // gra SRD += inc(upper)
s_sub_u32 s[sgprShadowLimitA+0], s[sgprShadowLimitA+0], s60 // limit -= inc)
s_subb_u32 s[sgprShadowLimitA+1], s[sgprShadowLimitA+1], s61 // limit -= inc)
s_cmp_eq_u32 s[sgprShadowLimitA+1], 0              // are we within 2^32?
s_cselect_b32 s[sgprSrdA+2], s[sgprShadowLimitA+0], BufferLimitA // Move shadow to real if we are within 2^32


/* SRDs += (StaggerUIter) * GlobalReadIncsB+0 */
s_mul_hi_u32 s61, s[sgprStaggerUIter], s[sgprGlobalReadIncsB+0] //  stagger byte offset
s_mul_i32 s60, s[sgprStaggerUIter], s[sgprGlobalReadIncsB+0] //  stagger byte offset
s_mul_hi_u32 s[sgprWrapUB+1], s[sgprLoopCounterL], s[sgprGlobalReadIncsB+0] // Number of bytes accessed by the unroll loop
s_mul_i32 s[sgprWrapUB+0], s[sgprLoopCounterL], s[sgprGlobalReadIncsB+0] // Number of bytes accessed by the unroll loop
s_sub_u32 s[sgprWrapUB+0], s[sgprGlobalReadIncsB+0], s[sgprWrapUB+0] // remove one iteration
s_subb_u32 s[sgprWrapUB+1], 0, s[sgprWrapUB+1]     // remove one iteration
s_add_u32 s[sgprSrdB+0], s[sgprSrdB+0], s60        // gra SRD += inc(lower)
s_addc_u32  s[sgprSrdB+1], s[sgprSrdB+1], s61      // gra SRD += inc(upper)
s_sub_u32 s[sgprShadowLimitB+0], s[sgprShadowLimitB+0], s60 // limit -= inc)
s_subb_u32 s[sgprShadowLimitB+1], s[sgprShadowLimitB+1], s61 // limit -= inc)
s_cmp_eq_u32 s[sgprShadowLimitB+1], 0              // are we within 2^32?
s_cselect_b32 s[sgprSrdB+2], s[sgprShadowLimitB+0], BufferLimitB // Move shadow to real if we are within 2^32
s_add_u32 s[sgprStaggerUIter], s[sgprStaggerUIter], 2 // Subtract (PGR-1); StaggerUIter now contains target iteration to wrap

/* local read addresses: init pointers a */


/* local read addresses: init pointers b */


/* localReadInitPointers */


/* prefetch: global -> local */

s_cmp_eq_u32 s[sgprLoopCounterL], 0                // at last iteration?
s_cbranch_scc1 ShadowInitStart_10                  // skip to ShadowInitStart iter b/c numIter==0


_buffer_load_b64 v[vgprG2LB+0:vgprG2LB+0+1], v[vgprGlobalReadOffsetB+0], s[sgprSrdB:sgprSrdB+3], 0, offen offset:0 // G -> Reg 0_0_0_0


_buffer_load_b128 v[vgprG2LA0+0:vgprG2LA0+0+3], v[vgprGlobalReadOffsetA+0], s[sgprSrdA:sgprSrdA+3], 0, offen offset:0 // G -> Reg 0_0_0_0
_buffer_load_b128 v[vgprG2LA0+4:vgprG2LA0+4+3], v[vgprGlobalReadOffsetA+1], s[sgprSrdA:sgprSrdA+3], 0, offen offset:0 // G -> Reg 1_0_0_0
_buffer_load_b128 v[vgprG2LA0+8:vgprG2LA0+8+3], v[vgprGlobalReadOffsetA+2], s[sgprSrdA:sgprSrdA+3], 0, offen offset:0 // G -> Reg 2_0_0_0
_buffer_load_b128 v[vgprG2LA0+12:vgprG2LA0+12+3], v[vgprGlobalReadOffsetA+3], s[sgprSrdA:sgprSrdA+3], 0, offen offset:0 // G -> Reg 3_0_0_0
_buffer_load_b128 v[vgprG2LA0+16:vgprG2LA0+16+3], v[vgprGlobalReadOffsetA+4], s[sgprSrdA:sgprSrdA+3], 0, offen offset:0 // G -> Reg 4_0_0_0
_buffer_load_b128 v[vgprG2LA0+20:vgprG2LA0+20+3], v[vgprGlobalReadOffsetA+5], s[sgprSrdA:sgprSrdA+3], 0, offen offset:0 // G -> Reg 5_0_0_0
_buffer_load_b128 v[vgprG2LA0+24:vgprG2LA0+24+3], v[vgprGlobalReadOffsetA+6], s[sgprSrdA:sgprSrdA+3], 0, offen offset:0 // G -> Reg 6_0_0_0
_buffer_load_b128 v[vgprG2LA0+28:vgprG2LA0+28+3], v[vgprGlobalReadOffsetA+7], s[sgprSrdA:sgprSrdA+3], 0, offen offset:0 // G -> Reg 7_0_0_0
_buffer_load_b128 v[vgprG2LA0+32:vgprG2LA0+32+3], v[vgprGlobalReadOffsetA+8], s[sgprSrdA:sgprSrdA+3], 0, offen offset:0 // G -> Reg 0_0_1_0
_buffer_load_b128 v[vgprG2LA0+36:vgprG2LA0+36+3], v[vgprGlobalReadOffsetA+9], s[sgprSrdA:sgprSrdA+3], 0, offen offset:0 // G -> Reg 1_0_1_0
_buffer_load_b128 v[vgprG2LA0+40:vgprG2LA0+40+3], v[vgprGlobalReadOffsetA+10], s[sgprSrdA:sgprSrdA+3], 0, offen offset:0 // G -> Reg 2_0_1_0
_buffer_load_b128 v[vgprG2LA0+44:vgprG2LA0+44+3], v[vgprGlobalReadOffsetA+11], s[sgprSrdA:sgprSrdA+3], 0, offen offset:0 // G -> Reg 3_0_1_0
_buffer_load_b128 v[vgprG2LA0+48:vgprG2LA0+48+3], v[vgprGlobalReadOffsetA+12], s[sgprSrdA:sgprSrdA+3], 0, offen offset:0 // G -> Reg 4_0_1_0
_buffer_load_b128 v[vgprG2LA0+52:vgprG2LA0+52+3], v[vgprGlobalReadOffsetA+13], s[sgprSrdA:sgprSrdA+3], 0, offen offset:0 // G -> Reg 5_0_1_0
_buffer_load_b128 v[vgprG2LA0+56:vgprG2LA0+56+3], v[vgprGlobalReadOffsetA+14], s[sgprSrdA:sgprSrdA+3], 0, offen offset:0 // G -> Reg 6_0_1_0
_buffer_load_b128 v[vgprG2LA0+60:vgprG2LA0+60+3], v[vgprGlobalReadOffsetA+15], s[sgprSrdA:sgprSrdA+3], 0, offen offset:0 // G -> Reg 7_0_1_0


/* global read inc A loopL */
s_add_u32 s62, s[sgprLoopCounterL], 1              // remove pf(1)
s_cmp_eq_u32 s[sgprStaggerUIter], s62              // Is this wrapIter? (pf)
s_cselect_b32 s60, s[sgprWrapUA+0], s[sgprGlobalReadIncsA+0] // incLower <- ?
s_cselect_b32 s61, s[sgprWrapUA+1], 0              // incUpper <- ?
s_add_u32 s[sgprSrdA+0], s[sgprSrdA+0], s60        // gra SRD += inc(lower)
s_addc_u32  s[sgprSrdA+1], s[sgprSrdA+1], s61      // gra SRD += inc(upper)
s_sub_u32 s[sgprShadowLimitA+0], s[sgprShadowLimitA+0], s60 // limit -= inc)
s_subb_u32 s[sgprShadowLimitA+1], s[sgprShadowLimitA+1], s61 // limit -= inc)
s_cmp_eq_u32 s[sgprShadowLimitA+1], 0              // are we within 2^32?
s_cselect_b32 s[sgprSrdA+2], s[sgprShadowLimitA+0], BufferLimitA // Move shadow to real if we are within 2^32

/* global read inc B loopL */
s_add_u32 s62, s[sgprLoopCounterL], 1              // remove pf(1)
s_cmp_eq_u32 s[sgprStaggerUIter], s62              // Is this wrapIter? (pf)
s_cselect_b32 s60, s[sgprWrapUB+0], s[sgprGlobalReadIncsB+0] // incLower <- ?
s_cselect_b32 s61, s[sgprWrapUB+1], 0              // incUpper <- ?
s_add_u32 s[sgprSrdB+0], s[sgprSrdB+0], s60        // gra SRD += inc(lower)
s_addc_u32  s[sgprSrdB+1], s[sgprSrdB+1], s61      // gra SRD += inc(upper)
s_sub_u32 s[sgprShadowLimitB+0], s[sgprShadowLimitB+0], s60 // limit -= inc)
s_subb_u32 s[sgprShadowLimitB+1], s[sgprShadowLimitB+1], s61 // limit -= inc)
s_cmp_eq_u32 s[sgprShadowLimitB+1], 0              // are we within 2^32?
s_cselect_b32 s[sgprSrdB+2], s[sgprShadowLimitB+0], BufferLimitB // Move shadow to real if we are within 2^32


/******************************************/
/* End setupNewTile, isPap=False             */
/******************************************/

ShadowInitStart_10: // 

s_mov_b32 s[sgprSrdD+2], BufferOOB                 // 
s_mov_b32 s[sgprSrdD+3], Srd127_96                 // Set bits 127_96 in post-loop SRD

s_mov_b32 s[sgprSrdC+2], BufferOOB                 // 
s_mov_b32 s[sgprSrdC+3], Srd127_96                 // Set bits 127_96 in post-loop SRD


s_mul_i32 s60, MT1, s[sgprWorkGroup1]              // <- wg1*MT1
s_mul_hi_u32 s59, s60, s[sgprStrideC1J]            // CScale s60 by Stride
s_mul_i32 s58, s60, s[sgprStrideC1J]               // CScale s60 by Stride
s_lshl_b64 s[58:59], s[58:59], 3                   // scale by bpe
s_add_u32 s[sgprSrdC+0], s[sgprSrdC+0], s58        // add lo to SRD
s_addc_u32 s[sgprSrdC+1], s[sgprSrdC+1], s59       // add hi to SRD
s_mul_hi_u32 s59, s60, s[sgprStrideD1J]            // Scale s60 by Stride
s_mul_i32 s58, s60, s[sgprStrideD1J]               // Scale s60 by Stride
s_lshl_b64 s[58:59], s[58:59], 3                   // scale by bpe
s_add_u32 s[sgprSrdD+0], s[sgprSrdD+0], s58        // add lo to SRD
s_addc_u32 s[sgprSrdD+1], s[sgprSrdD+1], s59       // add hi to SRD

s_mul_hi_u32 s59, s[sgprWorkGroup2], s[sgprStrideCK] // CScale s[sgprWorkGroup2] by Stride
s_mul_i32 s58, s[sgprWorkGroup2], s[sgprStrideCK]  // CScale s[sgprWorkGroup2] by Stride
s_lshl_b64 s[58:59], s[58:59], 3                   // scale by bpe
s_add_u32 s[sgprSrdC+0], s[sgprSrdC+0], s58        // add lo to SRD
s_addc_u32 s[sgprSrdC+1], s[sgprSrdC+1], s59       // add hi to SRD
s_mul_hi_u32 s59, s[sgprWorkGroup2], s[sgprStrideDK] // Scale s[sgprWorkGroup2] by Stride
s_mul_i32 s58, s[sgprWorkGroup2], s[sgprStrideDK]  // Scale s[sgprWorkGroup2] by Stride
s_lshl_b64 s[58:59], s[58:59], 3                   // scale by bpe
s_add_u32 s[sgprSrdD+0], s[sgprSrdD+0], s58        // add lo to SRD
s_addc_u32 s[sgprSrdD+1], s[sgprSrdD+1], s59       // add hi to SRD


	;; [unrolled: 1-line block ×3, first 2 shown]
/* initC: remove C-tile 0-0 from pool */

/* initC: remove AB-tile 0-8 from pool */
v_accvgpr_write acc0, 0x0                          // initC
v_accvgpr_write acc1, 0x0                          // initC
v_accvgpr_write acc2, 0x0                          // initC
v_accvgpr_write acc3, 0x0                          // initC
v_accvgpr_write acc4, 0x0                          // initC
v_accvgpr_write acc5, 0x0                          // initC
v_accvgpr_write acc6, 0x0                          // initC
v_accvgpr_write acc7, 0x0                          // initC
v_accvgpr_write acc8, 0x0                          // initC
v_accvgpr_write acc9, 0x0                          // initC
v_accvgpr_write acc10, 0x0                         // initC
v_accvgpr_write acc11, 0x0                         // initC
v_accvgpr_write acc12, 0x0                         // initC
v_accvgpr_write acc13, 0x0                         // initC
v_accvgpr_write acc14, 0x0                         // initC
v_accvgpr_write acc15, 0x0                         // initC
v_accvgpr_write acc16, 0x0                         // initC
v_accvgpr_write acc17, 0x0                         // initC
v_accvgpr_write acc18, 0x0                         // initC
v_accvgpr_write acc19, 0x0                         // initC
v_accvgpr_write acc20, 0x0                         // initC
v_accvgpr_write acc21, 0x0                         // initC
v_accvgpr_write acc22, 0x0                         // initC
v_accvgpr_write acc23, 0x0                         // initC
v_accvgpr_write acc24, 0x0                         // initC
v_accvgpr_write acc25, 0x0                         // initC
v_accvgpr_write acc26, 0x0                         // initC
v_accvgpr_write acc27, 0x0                         // initC
v_accvgpr_write acc28, 0x0                         // initC
v_accvgpr_write acc29, 0x0                         // initC
v_accvgpr_write acc30, 0x0                         // initC
v_accvgpr_write acc31, 0x0                         // initC
v_accvgpr_write acc32, 0x0                         // initC
v_accvgpr_write acc33, 0x0                         // initC
v_accvgpr_write acc34, 0x0                         // initC
v_accvgpr_write acc35, 0x0                         // initC
v_accvgpr_write acc36, 0x0                         // initC
v_accvgpr_write acc37, 0x0                         // initC
v_accvgpr_write acc38, 0x0                         // initC
v_accvgpr_write acc39, 0x0                         // initC
v_accvgpr_write acc40, 0x0                         // initC
v_accvgpr_write acc41, 0x0                         // initC
v_accvgpr_write acc42, 0x0                         // initC
v_accvgpr_write acc43, 0x0                         // initC
v_accvgpr_write acc44, 0x0                         // initC
v_accvgpr_write acc45, 0x0                         // initC
v_accvgpr_write acc46, 0x0                         // initC
v_accvgpr_write acc47, 0x0                         // initC
v_accvgpr_write acc48, 0x0                         // initC
v_accvgpr_write acc49, 0x0                         // initC
v_accvgpr_write acc50, 0x0                         // initC
v_accvgpr_write acc51, 0x0                         // initC
v_accvgpr_write acc52, 0x0                         // initC
v_accvgpr_write acc53, 0x0                         // initC
v_accvgpr_write acc54, 0x0                         // initC
v_accvgpr_write acc55, 0x0                         // initC
v_accvgpr_write acc56, 0x0                         // initC
v_accvgpr_write acc57, 0x0                         // initC
v_accvgpr_write acc58, 0x0                         // initC
v_accvgpr_write acc59, 0x0                         // initC
v_accvgpr_write acc60, 0x0                         // initC
v_accvgpr_write acc61, 0x0                         // initC
v_accvgpr_write acc62, 0x0                         // initC
v_accvgpr_write acc63, 0x0                         // initC
v_accvgpr_write acc64, 0x0                         // initC
v_accvgpr_write acc65, 0x0                         // initC
v_accvgpr_write acc66, 0x0                         // initC
v_accvgpr_write acc67, 0x0                         // initC
v_accvgpr_write acc68, 0x0                         // initC
v_accvgpr_write acc69, 0x0                         // initC
v_accvgpr_write acc70, 0x0                         // initC
v_accvgpr_write acc71, 0x0                         // initC
v_accvgpr_write acc72, 0x0                         // initC
v_accvgpr_write acc73, 0x0                         // initC
v_accvgpr_write acc74, 0x0                         // initC
v_accvgpr_write acc75, 0x0                         // initC
v_accvgpr_write acc76, 0x0                         // initC
v_accvgpr_write acc77, 0x0                         // initC
v_accvgpr_write acc78, 0x0                         // initC
v_accvgpr_write acc79, 0x0                         // initC
v_accvgpr_write acc80, 0x0                         // initC
v_accvgpr_write acc81, 0x0                         // initC
v_accvgpr_write acc82, 0x0                         // initC
v_accvgpr_write acc83, 0x0                         // initC
v_accvgpr_write acc84, 0x0                         // initC
v_accvgpr_write acc85, 0x0                         // initC
v_accvgpr_write acc86, 0x0                         // initC
v_accvgpr_write acc87, 0x0                         // initC
v_accvgpr_write acc88, 0x0                         // initC
v_accvgpr_write acc89, 0x0                         // initC
v_accvgpr_write acc90, 0x0                         // initC
v_accvgpr_write acc91, 0x0                         // initC
v_accvgpr_write acc92, 0x0                         // initC
v_accvgpr_write acc93, 0x0                         // initC
v_accvgpr_write acc94, 0x0                         // initC
v_accvgpr_write acc95, 0x0                         // initC
v_accvgpr_write acc96, 0x0                         // initC
v_accvgpr_write acc97, 0x0                         // initC
v_accvgpr_write acc98, 0x0                         // initC
v_accvgpr_write acc99, 0x0                         // initC
v_accvgpr_write acc100, 0x0                        // initC
v_accvgpr_write acc101, 0x0                        // initC
v_accvgpr_write acc102, 0x0                        // initC
v_accvgpr_write acc103, 0x0                        // initC
v_accvgpr_write acc104, 0x0                        // initC
v_accvgpr_write acc105, 0x0                        // initC
v_accvgpr_write acc106, 0x0                        // initC
v_accvgpr_write acc107, 0x0                        // initC
v_accvgpr_write acc108, 0x0                        // initC
v_accvgpr_write acc109, 0x0                        // initC
v_accvgpr_write acc110, 0x0                        // initC
v_accvgpr_write acc111, 0x0                        // initC
v_accvgpr_write acc112, 0x0                        // initC
v_accvgpr_write acc113, 0x0                        // initC
v_accvgpr_write acc114, 0x0                        // initC
v_accvgpr_write acc115, 0x0                        // initC
v_accvgpr_write acc116, 0x0                        // initC
v_accvgpr_write acc117, 0x0                        // initC
v_accvgpr_write acc118, 0x0                        // initC
v_accvgpr_write acc119, 0x0                        // initC
v_accvgpr_write acc120, 0x0                        // initC
v_accvgpr_write acc121, 0x0                        // initC
v_accvgpr_write acc122, 0x0                        // initC
v_accvgpr_write acc123, 0x0                        // initC
v_accvgpr_write acc124, 0x0                        // initC
v_accvgpr_write acc125, 0x0                        // initC
v_accvgpr_write acc126, 0x0                        // initC
v_accvgpr_write acc127, 0x0                        // initC
v_accvgpr_write acc128, 0x0                        // initC
v_accvgpr_write acc129, 0x0                        // initC
v_accvgpr_write acc130, 0x0                        // initC
v_accvgpr_write acc131, 0x0                        // initC
v_accvgpr_write acc132, 0x0                        // initC
v_accvgpr_write acc133, 0x0                        // initC
v_accvgpr_write acc134, 0x0                        // initC
v_accvgpr_write acc135, 0x0                        // initC
v_accvgpr_write acc136, 0x0                        // initC
v_accvgpr_write acc137, 0x0                        // initC
v_accvgpr_write acc138, 0x0                        // initC
v_accvgpr_write acc139, 0x0                        // initC
v_accvgpr_write acc140, 0x0                        // initC
v_accvgpr_write acc141, 0x0                        // initC
v_accvgpr_write acc142, 0x0                        // initC
v_accvgpr_write acc143, 0x0                        // initC
v_accvgpr_write acc144, 0x0                        // initC
v_accvgpr_write acc145, 0x0                        // initC
v_accvgpr_write acc146, 0x0                        // initC
v_accvgpr_write acc147, 0x0                        // initC
v_accvgpr_write acc148, 0x0                        // initC
v_accvgpr_write acc149, 0x0                        // initC
v_accvgpr_write acc150, 0x0                        // initC
v_accvgpr_write acc151, 0x0                        // initC
v_accvgpr_write acc152, 0x0                        // initC
v_accvgpr_write acc153, 0x0                        // initC
v_accvgpr_write acc154, 0x0                        // initC
v_accvgpr_write acc155, 0x0                        // initC
v_accvgpr_write acc156, 0x0                        // initC
v_accvgpr_write acc157, 0x0                        // initC
v_accvgpr_write acc158, 0x0                        // initC
v_accvgpr_write acc159, 0x0                        // initC
v_accvgpr_write acc160, 0x0                        // initC
v_accvgpr_write acc161, 0x0                        // initC
v_accvgpr_write acc162, 0x0                        // initC
v_accvgpr_write acc163, 0x0                        // initC
v_accvgpr_write acc164, 0x0                        // initC
v_accvgpr_write acc165, 0x0                        // initC
v_accvgpr_write acc166, 0x0                        // initC
v_accvgpr_write acc167, 0x0                        // initC
v_accvgpr_write acc168, 0x0                        // initC
v_accvgpr_write acc169, 0x0                        // initC
v_accvgpr_write acc170, 0x0                        // initC
v_accvgpr_write acc171, 0x0                        // initC
v_accvgpr_write acc172, 0x0                        // initC
v_accvgpr_write acc173, 0x0                        // initC
v_accvgpr_write acc174, 0x0                        // initC
v_accvgpr_write acc175, 0x0                        // initC
v_accvgpr_write acc176, 0x0                        // initC
v_accvgpr_write acc177, 0x0                        // initC
v_accvgpr_write acc178, 0x0                        // initC
v_accvgpr_write acc179, 0x0                        // initC
v_accvgpr_write acc180, 0x0                        // initC
v_accvgpr_write acc181, 0x0                        // initC
v_accvgpr_write acc182, 0x0                        // initC
v_accvgpr_write acc183, 0x0                        // initC
v_accvgpr_write acc184, 0x0                        // initC
v_accvgpr_write acc185, 0x0                        // initC
v_accvgpr_write acc186, 0x0                        // initC
v_accvgpr_write acc187, 0x0                        // initC
v_accvgpr_write acc188, 0x0                        // initC
v_accvgpr_write acc189, 0x0                        // initC
v_accvgpr_write acc190, 0x0                        // initC
v_accvgpr_write acc191, 0x0                        // initC
v_accvgpr_write acc192, 0x0                        // initC
v_accvgpr_write acc193, 0x0                        // initC
v_accvgpr_write acc194, 0x0                        // initC
v_accvgpr_write acc195, 0x0                        // initC
v_accvgpr_write acc196, 0x0                        // initC
v_accvgpr_write acc197, 0x0                        // initC
v_accvgpr_write acc198, 0x0                        // initC
v_accvgpr_write acc199, 0x0                        // initC
v_accvgpr_write acc200, 0x0                        // initC
v_accvgpr_write acc201, 0x0                        // initC
v_accvgpr_write acc202, 0x0                        // initC
v_accvgpr_write acc203, 0x0                        // initC
v_accvgpr_write acc204, 0x0                        // initC
v_accvgpr_write acc205, 0x0                        // initC
v_accvgpr_write acc206, 0x0                        // initC
v_accvgpr_write acc207, 0x0                        // initC
v_accvgpr_write acc208, 0x0                        // initC
v_accvgpr_write acc209, 0x0                        // initC
v_accvgpr_write acc210, 0x0                        // initC
v_accvgpr_write acc211, 0x0                        // initC
v_accvgpr_write acc212, 0x0                        // initC
v_accvgpr_write acc213, 0x0                        // initC
v_accvgpr_write acc214, 0x0                        // initC
v_accvgpr_write acc215, 0x0                        // initC
v_accvgpr_write acc216, 0x0                        // initC
v_accvgpr_write acc217, 0x0                        // initC
v_accvgpr_write acc218, 0x0                        // initC
v_accvgpr_write acc219, 0x0                        // initC
v_accvgpr_write acc220, 0x0                        // initC
v_accvgpr_write acc221, 0x0                        // initC
v_accvgpr_write acc222, 0x0                        // initC
v_accvgpr_write acc223, 0x0                        // initC
v_accvgpr_write acc224, 0x0                        // initC
v_accvgpr_write acc225, 0x0                        // initC
v_accvgpr_write acc226, 0x0                        // initC
v_accvgpr_write acc227, 0x0                        // initC
v_accvgpr_write acc228, 0x0                        // initC
v_accvgpr_write acc229, 0x0                        // initC
v_accvgpr_write acc230, 0x0                        // initC
v_accvgpr_write acc231, 0x0                        // initC
v_accvgpr_write acc232, 0x0                        // initC
v_accvgpr_write acc233, 0x0                        // initC
v_accvgpr_write acc234, 0x0                        // initC
v_accvgpr_write acc235, 0x0                        // initC
v_accvgpr_write acc236, 0x0                        // initC
v_accvgpr_write acc237, 0x0                        // initC
v_accvgpr_write acc238, 0x0                        // initC
v_accvgpr_write acc239, 0x0                        // initC
v_accvgpr_write acc240, 0x0                        // initC
v_accvgpr_write acc241, 0x0                        // initC
v_accvgpr_write acc242, 0x0                        // initC
v_accvgpr_write acc243, 0x0                        // initC
v_accvgpr_write acc244, 0x0                        // initC
v_accvgpr_write acc245, 0x0                        // initC
v_accvgpr_write acc246, 0x0                        // initC
v_accvgpr_write acc247, 0x0                        // initC
v_accvgpr_write acc248, 0x0                        // initC
v_accvgpr_write acc249, 0x0                        // initC
v_accvgpr_write acc250, 0x0                        // initC
v_accvgpr_write acc251, 0x0                        // initC
v_accvgpr_write acc252, 0x0                        // initC
v_accvgpr_write acc253, 0x0                        // initC
v_accvgpr_write acc254, 0x0                        // initC
v_accvgpr_write acc255, 0x0                        // initC

s_cmp_eq_u32 s[sgprLoopCounterL], 0                // at last iteration?

/* after InitC, skip to end of prefetch last iter if numIter==0 */
s_cbranch_scc0 label_NoBranch_11                   // Only branch on scc1
s_getpc_B64 s[58:59]                               // addr of next instr
s_add_i32 s60, PrefetchGlobalLastIterEnd_5, 0x4    // target branch offset
s_add_u32 s58, s58, s60                            // add target branch offset
s_addc_u32 s59, s59, 0                             // add high and carry
s_setpc_b64 s[58:59]                               // branch to PrefetchGlobalLastIterEnd_5
label_NoBranch_11:

s_waitcnt vmcnt(16)                                // lgkmcnt=-1 vmcnt=16 8wait for global read


/* local write a */

/* local write b */
_ds_store_b64 v[vgprLocalWriteAddrB], v[vgprG2LB+0:vgprG2LB+0+1] offset:0 // lwoB_0_0_0_0 = (0*LSCB)*(MT1J+PAD) + (0*LSPB) = 0


/* local write swap a */


/* (EPS=1) local write swap internal offset -> 4096 */


/* local write swap b */


/* (EPS=1) local write swap internal offset -> 4096 */


	;; [unrolled: 1-line block ×5, first 2 shown]
/******************************************/
/* Unrolled Loop(s) - Begin               */
/******************************************/

openLoopL_12:
s_cmp_le_u32 s[sgprLoopCounterL], 0x1              // LoopCounterL < EndCounter
s_cbranch_scc1 LoopEndL_2                          // do not enter LoopL
LoopBeginL_1:


/******************************************/
/* Unrolled Loop 1/2 - Begin              */
/******************************************/

label_0013: // LoopCopy1 

s_waitcnt lgkmcnt(0)                               // lgkmcnt=0 vmcnt=-11wait for local write

s_waitcnt lgkmcnt(0) & vmcnt(0)                    // force waitcnt0
s_barrier //4sync for global read


/* Begin Each Unroll: Check VGPR.checkin for INT8 LW */


	;; [unrolled: 1-line block ×3, first 2 shown]
/* iter 0 */

s_waitcnt vmcnt(8)                                 // lgkmcnt=-1 vmcnt=8global read wait for DirectToVgpr

/*  grEndMfmaIndex:56, lwStartMfmaIndex:63, lwEndMfmaIndex:63  */
/*  numMfmaForLR:12, barrierMfmaIndex:0 */
/*  mfmaIndex:0  */
_ds_load_b64 v[vgprValuB_X0_I0+0:vgprValuB_X0_I0+0+1], v[vgprLocalReadAddrB] offset:0 // L -> Reg lro=0 swapByteOffset=0 ti=16 vIdx=0 rIdx=0 oIdx=0 buffer=0 iui=0
_ds_load_b64 v[vgprValuB_X0_I0+2:vgprValuB_X0_I0+2+1], v[vgprLocalReadAddrB] offset:1536 // L -> Reg lro=0 swapByteOffset=0 ti=16 vIdx=1 rIdx=0 oIdx=0 buffer=0 iui=0
/* localReadsVacancy: latencyLeft 1 */
_buffer_load_b64 v[vgprG2LB+0:vgprG2LB+0+1], v[vgprGlobalReadOffsetB+0], s[sgprSrdB:sgprSrdB+3], 0, offen offset:0 // G -> Reg 0_0_0_0
s_waitcnt lgkmcnt(0)                               // lgkmcnt=0 vmcnt=-1wait for prior local read local write old=0, new=0 newLW=0 newLR=0
v_mfma_f64_16x16x4f64 a[0+0:7+0], v[vgprValuB_X0_I0+0+0+0:vgprValuB_X0_I0+0+0+0+1], v[vgprG2LA+0+0:vgprG2LA+0+0+1], a[0:7]
/*  mfmaIndex:1  */
/* localReadsVacancy: latencyLeft 5 */
_ds_load_b64 v[vgprValuB_X1_I0+0:vgprValuB_X1_I0+0+1], v[vgprLocalReadAddrB] offset:32 // L -> Reg lro=4 swapByteOffset=0 ti=16 vIdx=0 rIdx=0 oIdx=0 buffer=1 iui=0
_ds_load_b64 v[vgprValuB_X1_I0+2:vgprValuB_X1_I0+2+1], v[vgprLocalReadAddrB] offset:1568 // L -> Reg lro=4 swapByteOffset=0 ti=16 vIdx=1 rIdx=0 oIdx=0 buffer=1 iui=0
v_mfma_f64_16x16x4f64 a[8+0:15+0], v[vgprValuB_X0_I0+0+0+0:vgprValuB_X0_I0+0+0+0+1], v[vgprG2LA+2+0:vgprG2LA+2+0+1], a[8:15]
/*  mfmaIndex:2  */
/* localReadsVacancy: latencyLeft 5 */
v_mfma_f64_16x16x4f64 a[16+0:23+0], v[vgprValuB_X0_I0+0+0+0:vgprValuB_X0_I0+0+0+0+1], v[vgprG2LA+4+0:vgprG2LA+4+0+1], a[16:23]
/*  mfmaIndex:3  */
/* localReadsVacancy: latencyLeft 5 */
_buffer_load_b128 v[vgprG2LA1+0:vgprG2LA1+0+3], v[vgprGlobalReadOffsetA+0], s[sgprSrdA:sgprSrdA+3], 0, offen offset:0 // G -> Reg 0_0_0_0
v_mfma_f64_16x16x4f64 a[24+0:31+0], v[vgprValuB_X0_I0+0+0+0:vgprValuB_X0_I0+0+0+0+1], v[vgprG2LA+6+0:vgprG2LA+6+0+1], a[24:31]
/*  mfmaIndex:4  */
/* localReadsVacancy: latencyLeft 5 */
v_mfma_f64_16x16x4f64 a[32+0:39+0], v[vgprValuB_X0_I0+0+0+0:vgprValuB_X0_I0+0+0+0+1], v[vgprG2LA+8+0:vgprG2LA+8+0+1], a[32:39]
/*  mfmaIndex:5  */
/* localReadsVacancy: latencyLeft 5 */
	;; [unrolled: 3-line block ×3, first 2 shown]
_buffer_load_b128 v[vgprG2LA1+4:vgprG2LA1+4+3], v[vgprGlobalReadOffsetA+1], s[sgprSrdA:sgprSrdA+3], 0, offen offset:0 // G -> Reg 1_0_0_0
v_mfma_f64_16x16x4f64 a[48+0:55+0], v[vgprValuB_X0_I0+0+0+0:vgprValuB_X0_I0+0+0+0+1], v[vgprG2LA+12+0:vgprG2LA+12+0+1], a[48:55]
/*  mfmaIndex:7  */
/* localReadsVacancy: latencyLeft 5 */
v_mfma_f64_16x16x4f64 a[56+0:63+0], v[vgprValuB_X0_I0+0+0+0:vgprValuB_X0_I0+0+0+0+1], v[vgprG2LA+14+0:vgprG2LA+14+0+1], a[56:63]
/*  mfmaIndex:8  */
/* localReadsVacancy: latencyLeft 5 */
	;; [unrolled: 3-line block ×4, first 2 shown]
_buffer_load_b128 v[vgprG2LA1+8:vgprG2LA1+8+3], v[vgprGlobalReadOffsetA+2], s[sgprSrdA:sgprSrdA+3], 0, offen offset:0 // G -> Reg 2_0_0_0
v_mfma_f64_16x16x4f64 a[80+0:87+0], v[vgprValuB_X0_I0+0+0+0:vgprValuB_X0_I0+0+0+0+1], v[vgprG2LA+20+0:vgprG2LA+20+0+1], a[80:87]
/*  mfmaIndex:11  */
/* localReadsVacancy: latencyLeft 5 */
v_mfma_f64_16x16x4f64 a[88+0:95+0], v[vgprValuB_X0_I0+0+0+0:vgprValuB_X0_I0+0+0+0+1], v[vgprG2LA+22+0:vgprG2LA+22+0+1], a[88:95]
/*  mfmaIndex:12  */
/* localReadsVacancy: latencyLeft 5 */
	;; [unrolled: 3-line block ×3, first 2 shown]
_buffer_load_b128 v[vgprG2LA1+12:vgprG2LA1+12+3], v[vgprGlobalReadOffsetA+3], s[sgprSrdA:sgprSrdA+3], 0, offen offset:0 // G -> Reg 3_0_0_0
v_mfma_f64_16x16x4f64 a[104+0:111+0], v[vgprValuB_X0_I0+0+0+0:vgprValuB_X0_I0+0+0+0+1], v[vgprG2LA+26+0:vgprG2LA+26+0+1], a[104:111]
/*  mfmaIndex:14  */
/* localReadsVacancy: latencyLeft 5 */
v_mfma_f64_16x16x4f64 a[112+0:119+0], v[vgprValuB_X0_I0+0+0+0:vgprValuB_X0_I0+0+0+0+1], v[vgprG2LA+28+0:vgprG2LA+28+0+1], a[112:119]
/*  mfmaIndex:15  */
/* localReadsVacancy: latencyLeft 5 */
	;; [unrolled: 3-line block ×3, first 2 shown]
_buffer_load_b128 v[vgprG2LA1+16:vgprG2LA1+16+3], v[vgprGlobalReadOffsetA+4], s[sgprSrdA:sgprSrdA+3], 0, offen offset:0 // G -> Reg 4_0_0_0
v_mfma_f64_16x16x4f64 a[248+0:255+0], v[vgprValuB_X0_I0+2+0+0:vgprValuB_X0_I0+2+0+0+1], v[vgprG2LA+30+0:vgprG2LA+30+0+1], a[248:255]
/*  mfmaIndex:17  */
/* localReadsVacancy: latencyLeft 5 */
v_mfma_f64_16x16x4f64 a[240+0:247+0], v[vgprValuB_X0_I0+2+0+0:vgprValuB_X0_I0+2+0+0+1], v[vgprG2LA+28+0:vgprG2LA+28+0+1], a[240:247]
/*  mfmaIndex:18  */
/* localReadsVacancy: latencyLeft 5 */
	;; [unrolled: 3-line block ×4, first 2 shown]
_buffer_load_b128 v[vgprG2LA1+20:vgprG2LA1+20+3], v[vgprGlobalReadOffsetA+5], s[sgprSrdA:sgprSrdA+3], 0, offen offset:0 // G -> Reg 5_0_0_0
v_mfma_f64_16x16x4f64 a[216+0:223+0], v[vgprValuB_X0_I0+2+0+0:vgprValuB_X0_I0+2+0+0+1], v[vgprG2LA+22+0:vgprG2LA+22+0+1], a[216:223]
/*  mfmaIndex:21  */
/* localReadsVacancy: latencyLeft 5 */
v_mfma_f64_16x16x4f64 a[208+0:215+0], v[vgprValuB_X0_I0+2+0+0:vgprValuB_X0_I0+2+0+0+1], v[vgprG2LA+20+0:vgprG2LA+20+0+1], a[208:215]
/*  mfmaIndex:22  */
/* localReadsVacancy: latencyLeft 5 */
	;; [unrolled: 3-line block ×3, first 2 shown]
_buffer_load_b128 v[vgprG2LA1+24:vgprG2LA1+24+3], v[vgprGlobalReadOffsetA+6], s[sgprSrdA:sgprSrdA+3], 0, offen offset:0 // G -> Reg 6_0_0_0
v_mfma_f64_16x16x4f64 a[192+0:199+0], v[vgprValuB_X0_I0+2+0+0:vgprValuB_X0_I0+2+0+0+1], v[vgprG2LA+16+0:vgprG2LA+16+0+1], a[192:199]
/*  mfmaIndex:24  */
/* localReadsVacancy: latencyLeft 5 */
v_mfma_f64_16x16x4f64 a[184+0:191+0], v[vgprValuB_X0_I0+2+0+0:vgprValuB_X0_I0+2+0+0+1], v[vgprG2LA+14+0:vgprG2LA+14+0+1], a[184:191]
/*  mfmaIndex:25  */
/* localReadsVacancy: latencyLeft 5 */
	;; [unrolled: 3-line block ×3, first 2 shown]
_buffer_load_b128 v[vgprG2LA1+28:vgprG2LA1+28+3], v[vgprGlobalReadOffsetA+7], s[sgprSrdA:sgprSrdA+3], 0, offen offset:0 // G -> Reg 7_0_0_0
v_mfma_f64_16x16x4f64 a[168+0:175+0], v[vgprValuB_X0_I0+2+0+0:vgprValuB_X0_I0+2+0+0+1], v[vgprG2LA+10+0:vgprG2LA+10+0+1], a[168:175]
/*  mfmaIndex:27  */
/* localReadsVacancy: latencyLeft 5 */
v_mfma_f64_16x16x4f64 a[160+0:167+0], v[vgprValuB_X0_I0+2+0+0:vgprValuB_X0_I0+2+0+0+1], v[vgprG2LA+8+0:vgprG2LA+8+0+1], a[160:167]
/*  mfmaIndex:28  */
/* localReadsVacancy: latencyLeft 5 */
	;; [unrolled: 3-line block ×4, first 2 shown]
_buffer_load_b128 v[vgprG2LA1+32:vgprG2LA1+32+3], v[vgprGlobalReadOffsetA+8], s[sgprSrdA:sgprSrdA+3], 0, offen offset:0 // G -> Reg 0_0_1_0
v_mfma_f64_16x16x4f64 a[136+0:143+0], v[vgprValuB_X0_I0+2+0+0:vgprValuB_X0_I0+2+0+0+1], v[vgprG2LA+2+0:vgprG2LA+2+0+1], a[136:143]
/*  mfmaIndex:31  */
/* localReadsVacancy: latencyLeft 5 */
v_mfma_f64_16x16x4f64 a[128+0:135+0], v[vgprValuB_X0_I0+2+0+0:vgprValuB_X0_I0+2+0+0+1], v[vgprG2LA+0+0:vgprG2LA+0+0+1], a[128:135]
/* numPrefetchIter=0 */
/* dataAtIterA=0 numReadsIterA=1 skipReadsIterA=0 readsPerIterA=8 */
/* dataAtIterB=0 numReadsIterB=1 skipReadsIterB=0 readsPerIterB=2 */


/* iter 1 (reset local read pointers iteration)  (swap and reset local write pointers iteration)  (swap local read pointers iteration)  */

s_waitcnt vmcnt(10)                                // lgkmcnt=-1 vmcnt=10global read wait for DirectToVgpr

/*  grEndMfmaIndex:56, lwStartMfmaIndex:63, lwEndMfmaIndex:63  */
/*  numMfmaForLR:12, barrierMfmaIndex:0 */
/*  mfmaIndex:32  */
/* localReadsVacancy: latencyLeft 5 */
s_waitcnt lgkmcnt(0)                               // lgkmcnt=0 vmcnt=-1wait for prior local read local write old=0, new=0 newLW=0 newLR=0
v_mfma_f64_16x16x4f64 a[0+0:7+0], v[vgprValuB_X1_I0+0+0+0:vgprValuB_X1_I0+0+0+0+1], v[vgprG2LA+32+0:vgprG2LA+32+0+1], a[0:7]
/*  mfmaIndex:33  */
/* localReadsVacancy: latencyLeft 5 */
_buffer_load_b128 v[vgprG2LA1+36:vgprG2LA1+36+3], v[vgprGlobalReadOffsetA+9], s[sgprSrdA:sgprSrdA+3], 0, offen offset:0 // G -> Reg 1_0_1_0
v_mfma_f64_16x16x4f64 a[8+0:15+0], v[vgprValuB_X1_I0+0+0+0:vgprValuB_X1_I0+0+0+0+1], v[vgprG2LA+34+0:vgprG2LA+34+0+1], a[8:15]
/*  mfmaIndex:34  */
/* localReadsVacancy: latencyLeft 5 */
v_mfma_f64_16x16x4f64 a[16+0:23+0], v[vgprValuB_X1_I0+0+0+0:vgprValuB_X1_I0+0+0+0+1], v[vgprG2LA+36+0:vgprG2LA+36+0+1], a[16:23]
/*  mfmaIndex:35  */
/* localReadsVacancy: latencyLeft 5 */
	;; [unrolled: 3-line block ×3, first 2 shown]
_buffer_load_b128 v[vgprG2LA1+40:vgprG2LA1+40+3], v[vgprGlobalReadOffsetA+10], s[sgprSrdA:sgprSrdA+3], 0, offen offset:0 // G -> Reg 2_0_1_0
v_mfma_f64_16x16x4f64 a[32+0:39+0], v[vgprValuB_X1_I0+0+0+0:vgprValuB_X1_I0+0+0+0+1], v[vgprG2LA+40+0:vgprG2LA+40+0+1], a[32:39]
/*  mfmaIndex:37  */
/* localReadsVacancy: latencyLeft 5 */
v_mfma_f64_16x16x4f64 a[40+0:47+0], v[vgprValuB_X1_I0+0+0+0:vgprValuB_X1_I0+0+0+0+1], v[vgprG2LA+42+0:vgprG2LA+42+0+1], a[40:47]
/*  mfmaIndex:38  */
/* localReadsVacancy: latencyLeft 5 */
	;; [unrolled: 3-line block ×4, first 2 shown]
_buffer_load_b128 v[vgprG2LA1+44:vgprG2LA1+44+3], v[vgprGlobalReadOffsetA+11], s[sgprSrdA:sgprSrdA+3], 0, offen offset:0 // G -> Reg 3_0_1_0
v_mfma_f64_16x16x4f64 a[64+0:71+0], v[vgprValuB_X1_I0+0+0+0:vgprValuB_X1_I0+0+0+0+1], v[vgprG2LA+48+0:vgprG2LA+48+0+1], a[64:71]
/*  mfmaIndex:41  */
/* localReadsVacancy: latencyLeft 5 */
v_mfma_f64_16x16x4f64 a[72+0:79+0], v[vgprValuB_X1_I0+0+0+0:vgprValuB_X1_I0+0+0+0+1], v[vgprG2LA+50+0:vgprG2LA+50+0+1], a[72:79]
/*  mfmaIndex:42  */
/* localReadsVacancy: latencyLeft 5 */
	;; [unrolled: 3-line block ×3, first 2 shown]
_buffer_load_b128 v[vgprG2LA1+48:vgprG2LA1+48+3], v[vgprGlobalReadOffsetA+12], s[sgprSrdA:sgprSrdA+3], 0, offen offset:0 // G -> Reg 4_0_1_0
v_mfma_f64_16x16x4f64 a[88+0:95+0], v[vgprValuB_X1_I0+0+0+0:vgprValuB_X1_I0+0+0+0+1], v[vgprG2LA+54+0:vgprG2LA+54+0+1], a[88:95]
/*  mfmaIndex:44  */
/* localReadsVacancy: latencyLeft 5 */
v_mfma_f64_16x16x4f64 a[96+0:103+0], v[vgprValuB_X1_I0+0+0+0:vgprValuB_X1_I0+0+0+0+1], v[vgprG2LA+56+0:vgprG2LA+56+0+1], a[96:103]
/*  mfmaIndex:45  */
/* localReadsVacancy: latencyLeft 5 */
	;; [unrolled: 3-line block ×3, first 2 shown]
_buffer_load_b128 v[vgprG2LA1+52:vgprG2LA1+52+3], v[vgprGlobalReadOffsetA+13], s[sgprSrdA:sgprSrdA+3], 0, offen offset:0 // G -> Reg 5_0_1_0
v_mfma_f64_16x16x4f64 a[112+0:119+0], v[vgprValuB_X1_I0+0+0+0:vgprValuB_X1_I0+0+0+0+1], v[vgprG2LA+60+0:vgprG2LA+60+0+1], a[112:119]
/*  mfmaIndex:47  */
/* localReadsVacancy: latencyLeft 5 */
v_mfma_f64_16x16x4f64 a[120+0:127+0], v[vgprValuB_X1_I0+0+0+0:vgprValuB_X1_I0+0+0+0+1], v[vgprG2LA+62+0:vgprG2LA+62+0+1], a[120:127]
/*  mfmaIndex:48  */
/* localReadsVacancy: latencyLeft 5 */
	;; [unrolled: 3-line block ×4, first 2 shown]
_buffer_load_b128 v[vgprG2LA1+56:vgprG2LA1+56+3], v[vgprGlobalReadOffsetA+14], s[sgprSrdA:sgprSrdA+3], 0, offen offset:0 // G -> Reg 6_0_1_0
v_mfma_f64_16x16x4f64 a[232+0:239+0], v[vgprValuB_X1_I0+2+0+0:vgprValuB_X1_I0+2+0+0+1], v[vgprG2LA+58+0:vgprG2LA+58+0+1], a[232:239]
/*  mfmaIndex:51  */
/* localReadsVacancy: latencyLeft 5 */
v_mfma_f64_16x16x4f64 a[224+0:231+0], v[vgprValuB_X1_I0+2+0+0:vgprValuB_X1_I0+2+0+0+1], v[vgprG2LA+56+0:vgprG2LA+56+0+1], a[224:231]
/*  mfmaIndex:52  */
/* localReadsVacancy: latencyLeft 5 */
	;; [unrolled: 3-line block ×3, first 2 shown]
_buffer_load_b128 v[vgprG2LA1+60:vgprG2LA1+60+3], v[vgprGlobalReadOffsetA+15], s[sgprSrdA:sgprSrdA+3], 0, offen offset:0 // G -> Reg 7_0_1_0
v_mfma_f64_16x16x4f64 a[208+0:215+0], v[vgprValuB_X1_I0+2+0+0:vgprValuB_X1_I0+2+0+0+1], v[vgprG2LA+52+0:vgprG2LA+52+0+1], a[208:215]
/*  mfmaIndex:54  */
/* localReadsVacancy: latencyLeft 5 */
v_mfma_f64_16x16x4f64 a[200+0:207+0], v[vgprValuB_X1_I0+2+0+0:vgprValuB_X1_I0+2+0+0+1], v[vgprG2LA+50+0:vgprG2LA+50+0+1], a[200:207]
/*  mfmaIndex:55  */
/* localReadsVacancy: latencyLeft 5 */
	;; [unrolled: 3-line block ×3, first 2 shown]

/* global read inc B loopL */
s_cmp_eq_u32 s[sgprLoopCounterL], s[sgprStaggerUIter] // Is this the wrapIter?
s_cselect_b32 s58, s[sgprWrapUB+0], s[sgprGlobalReadIncsB+0] // incLower <- ?
s_cselect_b32 s59, s[sgprWrapUB+1], 0              // incUpper <- ?
v_mfma_f64_16x16x4f64 a[184+0:191+0], v[vgprValuB_X1_I0+2+0+0:vgprValuB_X1_I0+2+0+0+1], v[vgprG2LA+46+0:vgprG2LA+46+0+1], a[184:191]
/*  mfmaIndex:57  */
/* localReadsVacancy: latencyLeft 5 */
s_add_u32 s[sgprSrdB+0], s[sgprSrdB+0], s58        // gra SRD += inc(lower)
s_addc_u32  s[sgprSrdB+1], s[sgprSrdB+1], s59      // gra SRD += inc(upper)
s_sub_u32 s[sgprShadowLimitB+0], s[sgprShadowLimitB+0], s58 // limit -= inc)
v_mfma_f64_16x16x4f64 a[176+0:183+0], v[vgprValuB_X1_I0+2+0+0:vgprValuB_X1_I0+2+0+0+1], v[vgprG2LA+44+0:vgprG2LA+44+0+1], a[176:183]
/*  mfmaIndex:58  */
/* localReadsVacancy: latencyLeft 5 */
s_subb_u32 s[sgprShadowLimitB+1], s[sgprShadowLimitB+1], s59 // limit -= inc)
s_cmp_eq_u32 s[sgprShadowLimitB+1], 0              // are we within 2^32?
s_cselect_b32 s[sgprSrdB+2], s[sgprShadowLimitB+0], BufferLimitB // Move shadow to real if we are within 2^32
v_mfma_f64_16x16x4f64 a[168+0:175+0], v[vgprValuB_X1_I0+2+0+0:vgprValuB_X1_I0+2+0+0+1], v[vgprG2LA+42+0:vgprG2LA+42+0+1], a[168:175]
/*  mfmaIndex:59  */
/* localReadsVacancy: latencyLeft 5 */

/* global read inc A loopL */
s_cmp_eq_u32 s[sgprLoopCounterL], s[sgprStaggerUIter] // Is this the wrapIter?
s_cselect_b32 s58, s[sgprWrapUA+0], s[sgprGlobalReadIncsA+0] // incLower <- ?
s_cselect_b32 s59, s[sgprWrapUA+1], 0              // incUpper <- ?
v_mfma_f64_16x16x4f64 a[160+0:167+0], v[vgprValuB_X1_I0+2+0+0:vgprValuB_X1_I0+2+0+0+1], v[vgprG2LA+40+0:vgprG2LA+40+0+1], a[160:167]
/*  mfmaIndex:60  */
/* localReadsVacancy: latencyLeft 5 */
s_add_u32 s[sgprSrdA+0], s[sgprSrdA+0], s58        // gra SRD += inc(lower)
s_addc_u32  s[sgprSrdA+1], s[sgprSrdA+1], s59      // gra SRD += inc(upper)
s_sub_u32 s[sgprShadowLimitA+0], s[sgprShadowLimitA+0], s58 // limit -= inc)
v_mfma_f64_16x16x4f64 a[152+0:159+0], v[vgprValuB_X1_I0+2+0+0:vgprValuB_X1_I0+2+0+0+1], v[vgprG2LA+38+0:vgprG2LA+38+0+1], a[152:159]
/*  mfmaIndex:61  */
/* localReadsVacancy: latencyLeft 5 */
s_subb_u32 s[sgprShadowLimitA+1], s[sgprShadowLimitA+1], s59 // limit -= inc)
s_cmp_eq_u32 s[sgprShadowLimitA+1], 0              // are we within 2^32?
s_cselect_b32 s[sgprSrdA+2], s[sgprShadowLimitA+0], BufferLimitA // Move shadow to real if we are within 2^32
v_mfma_f64_16x16x4f64 a[144+0:151+0], v[vgprValuB_X1_I0+2+0+0:vgprValuB_X1_I0+2+0+0+1], v[vgprG2LA+36+0:vgprG2LA+36+0+1], a[144:151]
/*  mfmaIndex:62  */
/* localReadsVacancy: latencyLeft 5 */
v_mfma_f64_16x16x4f64 a[136+0:143+0], v[vgprValuB_X1_I0+2+0+0:vgprValuB_X1_I0+2+0+0+1], v[vgprG2LA+34+0:vgprG2LA+34+0+1], a[136:143]
/*  mfmaIndex:63  */
/* localReadsVacancy: latencyLeft 5 */
/* sched write - iter 1 writesPerItem=1 */
s_waitcnt vmcnt(0)                                 // lgkmcnt=-1 vmcnt=0wait for global read before writing to local
_ds_store_b64 v[vgprLocalWriteAddrB], v[vgprG2LB+0:vgprG2LB+0+1] offset:4096 // lwoB_0_0_0_0 = (0*LSCB)*(MT1J+PAD) + (0*LSPB) = 4096

/* local write swap offsets a */

/* (EPS=1) local write swap internal offset -> 0 */

/* local write swap offsets b */

/* (EPS=1) local write swap internal offset -> 0 */

/* local read swap offsets a */

/* local read swap offsets b */

/* local read swap internal offset -> 4096 */

/* local read init pointers a */

/* local read init pointers b */

/* localReadInitPointers */
v_mfma_f64_16x16x4f64 a[128+0:135+0], v[vgprValuB_X1_I0+2+0+0:vgprValuB_X1_I0+2+0+0+1], v[vgprG2LA+32+0:vgprG2LA+32+0+1], a[128:135]
/* numPrefetchIter=0 */
/* dataAtIterA=1 numReadsIterA=2 skipReadsIterA=0 readsPerIterA=8 */
/* dataAtIterB=1 numReadsIterB=2 skipReadsIterB=0 readsPerIterB=2 */


/******************************************/
/* Unrolled Loop - End 1/2                */
/******************************************/


/* closeLoop loopL finalLoop=0 tailLoop=0 */
s_sub_u32 s[sgprLoopCounterL], s[sgprLoopCounterL], 1 // dec counterL
s_cmp_eq_i32 s[sgprLoopCounterL], 0x1              // counterL==1
s_cbranch_scc1 LoopEndL_oddexit_3                  // exit LoopL


/******************************************/
/* Unrolled Loop 2/2 - Begin              */
/******************************************/

label_0014: // LoopCopy2 

s_waitcnt lgkmcnt(0)                               // lgkmcnt=0 vmcnt=-11wait for local write

s_waitcnt lgkmcnt(0) & vmcnt(0)                    // force waitcnt0
s_barrier //4sync for global read


/* Begin Each Unroll: Check VGPR.checkin for INT8 LW */


	;; [unrolled: 1-line block ×3, first 2 shown]
/* iter 0 */

s_waitcnt vmcnt(8)                                 // lgkmcnt=-1 vmcnt=8global read wait for DirectToVgpr

/*  grEndMfmaIndex:56, lwStartMfmaIndex:63, lwEndMfmaIndex:63  */
/*  numMfmaForLR:12, barrierMfmaIndex:0 */
/*  mfmaIndex:0  */
_ds_load_b64 v[vgprValuB_X0_I0+0:vgprValuB_X0_I0+0+1], v[vgprLocalReadAddrB] offset:4096 // L -> Reg lro=0 swapByteOffset=4096 ti=16 vIdx=0 rIdx=0 oIdx=0 buffer=0 iui=0
_ds_load_b64 v[vgprValuB_X0_I0+2:vgprValuB_X0_I0+2+1], v[vgprLocalReadAddrB] offset:5632 // L -> Reg lro=0 swapByteOffset=4096 ti=16 vIdx=1 rIdx=0 oIdx=0 buffer=0 iui=0
/* localReadsVacancy: latencyLeft 1 */
_buffer_load_b64 v[vgprG2LB+0:vgprG2LB+0+1], v[vgprGlobalReadOffsetB+0], s[sgprSrdB:sgprSrdB+3], 0, offen offset:0 // G -> Reg 0_0_0_0
s_waitcnt lgkmcnt(0)                               // lgkmcnt=0 vmcnt=-1wait for prior local read local write old=0, new=0 newLW=0 newLR=0
v_mfma_f64_16x16x4f64 a[0+0:7+0], v[vgprValuB_X0_I0+0+0+0:vgprValuB_X0_I0+0+0+0+1], v[vgprG2LA+64+0:vgprG2LA+64+0+1], a[0:7]
/*  mfmaIndex:1  */
/* localReadsVacancy: latencyLeft 5 */
_ds_load_b64 v[vgprValuB_X1_I0+0:vgprValuB_X1_I0+0+1], v[vgprLocalReadAddrB] offset:4128 // L -> Reg lro=4 swapByteOffset=4096 ti=16 vIdx=0 rIdx=0 oIdx=0 buffer=1 iui=0
_ds_load_b64 v[vgprValuB_X1_I0+2:vgprValuB_X1_I0+2+1], v[vgprLocalReadAddrB] offset:5664 // L -> Reg lro=4 swapByteOffset=4096 ti=16 vIdx=1 rIdx=0 oIdx=0 buffer=1 iui=0
v_mfma_f64_16x16x4f64 a[8+0:15+0], v[vgprValuB_X0_I0+0+0+0:vgprValuB_X0_I0+0+0+0+1], v[vgprG2LA+66+0:vgprG2LA+66+0+1], a[8:15]
/*  mfmaIndex:2  */
/* localReadsVacancy: latencyLeft 5 */
v_mfma_f64_16x16x4f64 a[16+0:23+0], v[vgprValuB_X0_I0+0+0+0:vgprValuB_X0_I0+0+0+0+1], v[vgprG2LA+68+0:vgprG2LA+68+0+1], a[16:23]
/*  mfmaIndex:3  */
/* localReadsVacancy: latencyLeft 5 */
_buffer_load_b128 v[vgprG2LA0+0:vgprG2LA0+0+3], v[vgprGlobalReadOffsetA+0], s[sgprSrdA:sgprSrdA+3], 0, offen offset:0 // G -> Reg 0_0_0_0
v_mfma_f64_16x16x4f64 a[24+0:31+0], v[vgprValuB_X0_I0+0+0+0:vgprValuB_X0_I0+0+0+0+1], v[vgprG2LA+70+0:vgprG2LA+70+0+1], a[24:31]
/*  mfmaIndex:4  */
/* localReadsVacancy: latencyLeft 5 */
v_mfma_f64_16x16x4f64 a[32+0:39+0], v[vgprValuB_X0_I0+0+0+0:vgprValuB_X0_I0+0+0+0+1], v[vgprG2LA+72+0:vgprG2LA+72+0+1], a[32:39]
/*  mfmaIndex:5  */
/* localReadsVacancy: latencyLeft 5 */
	;; [unrolled: 3-line block ×3, first 2 shown]
_buffer_load_b128 v[vgprG2LA0+4:vgprG2LA0+4+3], v[vgprGlobalReadOffsetA+1], s[sgprSrdA:sgprSrdA+3], 0, offen offset:0 // G -> Reg 1_0_0_0
v_mfma_f64_16x16x4f64 a[48+0:55+0], v[vgprValuB_X0_I0+0+0+0:vgprValuB_X0_I0+0+0+0+1], v[vgprG2LA+76+0:vgprG2LA+76+0+1], a[48:55]
/*  mfmaIndex:7  */
/* localReadsVacancy: latencyLeft 5 */
v_mfma_f64_16x16x4f64 a[56+0:63+0], v[vgprValuB_X0_I0+0+0+0:vgprValuB_X0_I0+0+0+0+1], v[vgprG2LA+78+0:vgprG2LA+78+0+1], a[56:63]
/*  mfmaIndex:8  */
/* localReadsVacancy: latencyLeft 5 */
	;; [unrolled: 3-line block ×4, first 2 shown]
_buffer_load_b128 v[vgprG2LA0+8:vgprG2LA0+8+3], v[vgprGlobalReadOffsetA+2], s[sgprSrdA:sgprSrdA+3], 0, offen offset:0 // G -> Reg 2_0_0_0
v_mfma_f64_16x16x4f64 a[80+0:87+0], v[vgprValuB_X0_I0+0+0+0:vgprValuB_X0_I0+0+0+0+1], v[vgprG2LA+84+0:vgprG2LA+84+0+1], a[80:87]
/*  mfmaIndex:11  */
/* localReadsVacancy: latencyLeft 5 */
v_mfma_f64_16x16x4f64 a[88+0:95+0], v[vgprValuB_X0_I0+0+0+0:vgprValuB_X0_I0+0+0+0+1], v[vgprG2LA+86+0:vgprG2LA+86+0+1], a[88:95]
/*  mfmaIndex:12  */
/* localReadsVacancy: latencyLeft 5 */
	;; [unrolled: 3-line block ×3, first 2 shown]
_buffer_load_b128 v[vgprG2LA0+12:vgprG2LA0+12+3], v[vgprGlobalReadOffsetA+3], s[sgprSrdA:sgprSrdA+3], 0, offen offset:0 // G -> Reg 3_0_0_0
v_mfma_f64_16x16x4f64 a[104+0:111+0], v[vgprValuB_X0_I0+0+0+0:vgprValuB_X0_I0+0+0+0+1], v[vgprG2LA+90+0:vgprG2LA+90+0+1], a[104:111]
/*  mfmaIndex:14  */
/* localReadsVacancy: latencyLeft 5 */
v_mfma_f64_16x16x4f64 a[112+0:119+0], v[vgprValuB_X0_I0+0+0+0:vgprValuB_X0_I0+0+0+0+1], v[vgprG2LA+92+0:vgprG2LA+92+0+1], a[112:119]
/*  mfmaIndex:15  */
/* localReadsVacancy: latencyLeft 5 */
	;; [unrolled: 3-line block ×3, first 2 shown]
_buffer_load_b128 v[vgprG2LA0+16:vgprG2LA0+16+3], v[vgprGlobalReadOffsetA+4], s[sgprSrdA:sgprSrdA+3], 0, offen offset:0 // G -> Reg 4_0_0_0
v_mfma_f64_16x16x4f64 a[248+0:255+0], v[vgprValuB_X0_I0+2+0+0:vgprValuB_X0_I0+2+0+0+1], v[vgprG2LA+94+0:vgprG2LA+94+0+1], a[248:255]
/*  mfmaIndex:17  */
/* localReadsVacancy: latencyLeft 5 */
v_mfma_f64_16x16x4f64 a[240+0:247+0], v[vgprValuB_X0_I0+2+0+0:vgprValuB_X0_I0+2+0+0+1], v[vgprG2LA+92+0:vgprG2LA+92+0+1], a[240:247]
/*  mfmaIndex:18  */
/* localReadsVacancy: latencyLeft 5 */
	;; [unrolled: 3-line block ×4, first 2 shown]
_buffer_load_b128 v[vgprG2LA0+20:vgprG2LA0+20+3], v[vgprGlobalReadOffsetA+5], s[sgprSrdA:sgprSrdA+3], 0, offen offset:0 // G -> Reg 5_0_0_0
v_mfma_f64_16x16x4f64 a[216+0:223+0], v[vgprValuB_X0_I0+2+0+0:vgprValuB_X0_I0+2+0+0+1], v[vgprG2LA+86+0:vgprG2LA+86+0+1], a[216:223]
/*  mfmaIndex:21  */
/* localReadsVacancy: latencyLeft 5 */
v_mfma_f64_16x16x4f64 a[208+0:215+0], v[vgprValuB_X0_I0+2+0+0:vgprValuB_X0_I0+2+0+0+1], v[vgprG2LA+84+0:vgprG2LA+84+0+1], a[208:215]
/*  mfmaIndex:22  */
/* localReadsVacancy: latencyLeft 5 */
	;; [unrolled: 3-line block ×3, first 2 shown]
_buffer_load_b128 v[vgprG2LA0+24:vgprG2LA0+24+3], v[vgprGlobalReadOffsetA+6], s[sgprSrdA:sgprSrdA+3], 0, offen offset:0 // G -> Reg 6_0_0_0
v_mfma_f64_16x16x4f64 a[192+0:199+0], v[vgprValuB_X0_I0+2+0+0:vgprValuB_X0_I0+2+0+0+1], v[vgprG2LA+80+0:vgprG2LA+80+0+1], a[192:199]
/*  mfmaIndex:24  */
/* localReadsVacancy: latencyLeft 5 */
v_mfma_f64_16x16x4f64 a[184+0:191+0], v[vgprValuB_X0_I0+2+0+0:vgprValuB_X0_I0+2+0+0+1], v[vgprG2LA+78+0:vgprG2LA+78+0+1], a[184:191]
/*  mfmaIndex:25  */
/* localReadsVacancy: latencyLeft 5 */
	;; [unrolled: 3-line block ×3, first 2 shown]
_buffer_load_b128 v[vgprG2LA0+28:vgprG2LA0+28+3], v[vgprGlobalReadOffsetA+7], s[sgprSrdA:sgprSrdA+3], 0, offen offset:0 // G -> Reg 7_0_0_0
v_mfma_f64_16x16x4f64 a[168+0:175+0], v[vgprValuB_X0_I0+2+0+0:vgprValuB_X0_I0+2+0+0+1], v[vgprG2LA+74+0:vgprG2LA+74+0+1], a[168:175]
/*  mfmaIndex:27  */
/* localReadsVacancy: latencyLeft 5 */
v_mfma_f64_16x16x4f64 a[160+0:167+0], v[vgprValuB_X0_I0+2+0+0:vgprValuB_X0_I0+2+0+0+1], v[vgprG2LA+72+0:vgprG2LA+72+0+1], a[160:167]
/*  mfmaIndex:28  */
/* localReadsVacancy: latencyLeft 5 */
v_mfma_f64_16x16x4f64 a[152+0:159+0], v[vgprValuB_X0_I0+2+0+0:vgprValuB_X0_I0+2+0+0+1], v[vgprG2LA+70+0:vgprG2LA+70+0+1], a[152:159]
/*  mfmaIndex:29  */
/* localReadsVacancy: latencyLeft 5 */
v_mfma_f64_16x16x4f64 a[144+0:151+0], v[vgprValuB_X0_I0+2+0+0:vgprValuB_X0_I0+2+0+0+1], v[vgprG2LA+68+0:vgprG2LA+68+0+1], a[144:151]
/*  mfmaIndex:30  */
/* localReadsVacancy: latencyLeft 5 */
_buffer_load_b128 v[vgprG2LA0+32:vgprG2LA0+32+3], v[vgprGlobalReadOffsetA+8], s[sgprSrdA:sgprSrdA+3], 0, offen offset:0 // G -> Reg 0_0_1_0
v_mfma_f64_16x16x4f64 a[136+0:143+0], v[vgprValuB_X0_I0+2+0+0:vgprValuB_X0_I0+2+0+0+1], v[vgprG2LA+66+0:vgprG2LA+66+0+1], a[136:143]
/*  mfmaIndex:31  */
/* localReadsVacancy: latencyLeft 5 */
v_mfma_f64_16x16x4f64 a[128+0:135+0], v[vgprValuB_X0_I0+2+0+0:vgprValuB_X0_I0+2+0+0+1], v[vgprG2LA+64+0:vgprG2LA+64+0+1], a[128:135]
/* numPrefetchIter=0 */
/* dataAtIterA=0 numReadsIterA=1 skipReadsIterA=0 readsPerIterA=8 */
/* dataAtIterB=0 numReadsIterB=1 skipReadsIterB=0 readsPerIterB=2 */


/* iter 1 (reset local read pointers iteration)  (swap and reset local write pointers iteration)  (swap local read pointers iteration)  */

s_waitcnt vmcnt(10)                                // lgkmcnt=-1 vmcnt=10global read wait for DirectToVgpr

/*  grEndMfmaIndex:56, lwStartMfmaIndex:63, lwEndMfmaIndex:63  */
/*  numMfmaForLR:12, barrierMfmaIndex:0 */
/*  mfmaIndex:32  */
/* localReadsVacancy: latencyLeft 5 */
s_waitcnt lgkmcnt(0)                               // lgkmcnt=0 vmcnt=-1wait for prior local read local write old=0, new=0 newLW=0 newLR=0
v_mfma_f64_16x16x4f64 a[0+0:7+0], v[vgprValuB_X1_I0+0+0+0:vgprValuB_X1_I0+0+0+0+1], v[vgprG2LA+96+0:vgprG2LA+96+0+1], a[0:7]
/*  mfmaIndex:33  */
/* localReadsVacancy: latencyLeft 5 */
_buffer_load_b128 v[vgprG2LA0+36:vgprG2LA0+36+3], v[vgprGlobalReadOffsetA+9], s[sgprSrdA:sgprSrdA+3], 0, offen offset:0 // G -> Reg 1_0_1_0
v_mfma_f64_16x16x4f64 a[8+0:15+0], v[vgprValuB_X1_I0+0+0+0:vgprValuB_X1_I0+0+0+0+1], v[vgprG2LA+98+0:vgprG2LA+98+0+1], a[8:15]
/*  mfmaIndex:34  */
/* localReadsVacancy: latencyLeft 5 */
v_mfma_f64_16x16x4f64 a[16+0:23+0], v[vgprValuB_X1_I0+0+0+0:vgprValuB_X1_I0+0+0+0+1], v[vgprG2LA+100+0:vgprG2LA+100+0+1], a[16:23]
/*  mfmaIndex:35  */
/* localReadsVacancy: latencyLeft 5 */
	;; [unrolled: 3-line block ×3, first 2 shown]
_buffer_load_b128 v[vgprG2LA0+40:vgprG2LA0+40+3], v[vgprGlobalReadOffsetA+10], s[sgprSrdA:sgprSrdA+3], 0, offen offset:0 // G -> Reg 2_0_1_0
v_mfma_f64_16x16x4f64 a[32+0:39+0], v[vgprValuB_X1_I0+0+0+0:vgprValuB_X1_I0+0+0+0+1], v[vgprG2LA+104+0:vgprG2LA+104+0+1], a[32:39]
/*  mfmaIndex:37  */
/* localReadsVacancy: latencyLeft 5 */
v_mfma_f64_16x16x4f64 a[40+0:47+0], v[vgprValuB_X1_I0+0+0+0:vgprValuB_X1_I0+0+0+0+1], v[vgprG2LA+106+0:vgprG2LA+106+0+1], a[40:47]
/*  mfmaIndex:38  */
/* localReadsVacancy: latencyLeft 5 */
v_mfma_f64_16x16x4f64 a[48+0:55+0], v[vgprValuB_X1_I0+0+0+0:vgprValuB_X1_I0+0+0+0+1], v[vgprG2LA+108+0:vgprG2LA+108+0+1], a[48:55]
/*  mfmaIndex:39  */
/* localReadsVacancy: latencyLeft 5 */
v_mfma_f64_16x16x4f64 a[56+0:63+0], v[vgprValuB_X1_I0+0+0+0:vgprValuB_X1_I0+0+0+0+1], v[vgprG2LA+110+0:vgprG2LA+110+0+1], a[56:63]
/*  mfmaIndex:40  */
/* localReadsVacancy: latencyLeft 5 */
_buffer_load_b128 v[vgprG2LA0+44:vgprG2LA0+44+3], v[vgprGlobalReadOffsetA+11], s[sgprSrdA:sgprSrdA+3], 0, offen offset:0 // G -> Reg 3_0_1_0
v_mfma_f64_16x16x4f64 a[64+0:71+0], v[vgprValuB_X1_I0+0+0+0:vgprValuB_X1_I0+0+0+0+1], v[vgprG2LA+112+0:vgprG2LA+112+0+1], a[64:71]
/*  mfmaIndex:41  */
/* localReadsVacancy: latencyLeft 5 */
v_mfma_f64_16x16x4f64 a[72+0:79+0], v[vgprValuB_X1_I0+0+0+0:vgprValuB_X1_I0+0+0+0+1], v[vgprG2LA+114+0:vgprG2LA+114+0+1], a[72:79]
/*  mfmaIndex:42  */
/* localReadsVacancy: latencyLeft 5 */
	;; [unrolled: 3-line block ×3, first 2 shown]
_buffer_load_b128 v[vgprG2LA0+48:vgprG2LA0+48+3], v[vgprGlobalReadOffsetA+12], s[sgprSrdA:sgprSrdA+3], 0, offen offset:0 // G -> Reg 4_0_1_0
v_mfma_f64_16x16x4f64 a[88+0:95+0], v[vgprValuB_X1_I0+0+0+0:vgprValuB_X1_I0+0+0+0+1], v[vgprG2LA+118+0:vgprG2LA+118+0+1], a[88:95]
/*  mfmaIndex:44  */
/* localReadsVacancy: latencyLeft 5 */
v_mfma_f64_16x16x4f64 a[96+0:103+0], v[vgprValuB_X1_I0+0+0+0:vgprValuB_X1_I0+0+0+0+1], v[vgprG2LA+120+0:vgprG2LA+120+0+1], a[96:103]
/*  mfmaIndex:45  */
/* localReadsVacancy: latencyLeft 5 */
	;; [unrolled: 3-line block ×3, first 2 shown]
_buffer_load_b128 v[vgprG2LA0+52:vgprG2LA0+52+3], v[vgprGlobalReadOffsetA+13], s[sgprSrdA:sgprSrdA+3], 0, offen offset:0 // G -> Reg 5_0_1_0
v_mfma_f64_16x16x4f64 a[112+0:119+0], v[vgprValuB_X1_I0+0+0+0:vgprValuB_X1_I0+0+0+0+1], v[vgprG2LA+124+0:vgprG2LA+124+0+1], a[112:119]
/*  mfmaIndex:47  */
/* localReadsVacancy: latencyLeft 5 */
v_mfma_f64_16x16x4f64 a[120+0:127+0], v[vgprValuB_X1_I0+0+0+0:vgprValuB_X1_I0+0+0+0+1], v[vgprG2LA+126+0:vgprG2LA+126+0+1], a[120:127]
/*  mfmaIndex:48  */
/* localReadsVacancy: latencyLeft 5 */
	;; [unrolled: 3-line block ×4, first 2 shown]
_buffer_load_b128 v[vgprG2LA0+56:vgprG2LA0+56+3], v[vgprGlobalReadOffsetA+14], s[sgprSrdA:sgprSrdA+3], 0, offen offset:0 // G -> Reg 6_0_1_0
v_mfma_f64_16x16x4f64 a[232+0:239+0], v[vgprValuB_X1_I0+2+0+0:vgprValuB_X1_I0+2+0+0+1], v[vgprG2LA+122+0:vgprG2LA+122+0+1], a[232:239]
/*  mfmaIndex:51  */
/* localReadsVacancy: latencyLeft 5 */
v_mfma_f64_16x16x4f64 a[224+0:231+0], v[vgprValuB_X1_I0+2+0+0:vgprValuB_X1_I0+2+0+0+1], v[vgprG2LA+120+0:vgprG2LA+120+0+1], a[224:231]
/*  mfmaIndex:52  */
/* localReadsVacancy: latencyLeft 5 */
	;; [unrolled: 3-line block ×3, first 2 shown]
_buffer_load_b128 v[vgprG2LA0+60:vgprG2LA0+60+3], v[vgprGlobalReadOffsetA+15], s[sgprSrdA:sgprSrdA+3], 0, offen offset:0 // G -> Reg 7_0_1_0
v_mfma_f64_16x16x4f64 a[208+0:215+0], v[vgprValuB_X1_I0+2+0+0:vgprValuB_X1_I0+2+0+0+1], v[vgprG2LA+116+0:vgprG2LA+116+0+1], a[208:215]
/*  mfmaIndex:54  */
/* localReadsVacancy: latencyLeft 5 */
v_mfma_f64_16x16x4f64 a[200+0:207+0], v[vgprValuB_X1_I0+2+0+0:vgprValuB_X1_I0+2+0+0+1], v[vgprG2LA+114+0:vgprG2LA+114+0+1], a[200:207]
/*  mfmaIndex:55  */
/* localReadsVacancy: latencyLeft 5 */
	;; [unrolled: 3-line block ×3, first 2 shown]

/* global read inc B loopL */
s_cmp_eq_u32 s[sgprLoopCounterL], s[sgprStaggerUIter] // Is this the wrapIter?
s_cselect_b32 s58, s[sgprWrapUB+0], s[sgprGlobalReadIncsB+0] // incLower <- ?
s_cselect_b32 s59, s[sgprWrapUB+1], 0              // incUpper <- ?
v_mfma_f64_16x16x4f64 a[184+0:191+0], v[vgprValuB_X1_I0+2+0+0:vgprValuB_X1_I0+2+0+0+1], v[vgprG2LA+110+0:vgprG2LA+110+0+1], a[184:191]
/*  mfmaIndex:57  */
/* localReadsVacancy: latencyLeft 5 */
s_add_u32 s[sgprSrdB+0], s[sgprSrdB+0], s58        // gra SRD += inc(lower)
s_addc_u32  s[sgprSrdB+1], s[sgprSrdB+1], s59      // gra SRD += inc(upper)
s_sub_u32 s[sgprShadowLimitB+0], s[sgprShadowLimitB+0], s58 // limit -= inc)
v_mfma_f64_16x16x4f64 a[176+0:183+0], v[vgprValuB_X1_I0+2+0+0:vgprValuB_X1_I0+2+0+0+1], v[vgprG2LA+108+0:vgprG2LA+108+0+1], a[176:183]
/*  mfmaIndex:58  */
/* localReadsVacancy: latencyLeft 5 */
s_subb_u32 s[sgprShadowLimitB+1], s[sgprShadowLimitB+1], s59 // limit -= inc)
s_cmp_eq_u32 s[sgprShadowLimitB+1], 0              // are we within 2^32?
s_cselect_b32 s[sgprSrdB+2], s[sgprShadowLimitB+0], BufferLimitB // Move shadow to real if we are within 2^32
v_mfma_f64_16x16x4f64 a[168+0:175+0], v[vgprValuB_X1_I0+2+0+0:vgprValuB_X1_I0+2+0+0+1], v[vgprG2LA+106+0:vgprG2LA+106+0+1], a[168:175]
/*  mfmaIndex:59  */
/* localReadsVacancy: latencyLeft 5 */

/* global read inc A loopL */
s_cmp_eq_u32 s[sgprLoopCounterL], s[sgprStaggerUIter] // Is this the wrapIter?
s_cselect_b32 s58, s[sgprWrapUA+0], s[sgprGlobalReadIncsA+0] // incLower <- ?
s_cselect_b32 s59, s[sgprWrapUA+1], 0              // incUpper <- ?
v_mfma_f64_16x16x4f64 a[160+0:167+0], v[vgprValuB_X1_I0+2+0+0:vgprValuB_X1_I0+2+0+0+1], v[vgprG2LA+104+0:vgprG2LA+104+0+1], a[160:167]
/*  mfmaIndex:60  */
/* localReadsVacancy: latencyLeft 5 */
s_add_u32 s[sgprSrdA+0], s[sgprSrdA+0], s58        // gra SRD += inc(lower)
s_addc_u32  s[sgprSrdA+1], s[sgprSrdA+1], s59      // gra SRD += inc(upper)
s_sub_u32 s[sgprShadowLimitA+0], s[sgprShadowLimitA+0], s58 // limit -= inc)
v_mfma_f64_16x16x4f64 a[152+0:159+0], v[vgprValuB_X1_I0+2+0+0:vgprValuB_X1_I0+2+0+0+1], v[vgprG2LA+102+0:vgprG2LA+102+0+1], a[152:159]
/*  mfmaIndex:61  */
/* localReadsVacancy: latencyLeft 5 */
s_subb_u32 s[sgprShadowLimitA+1], s[sgprShadowLimitA+1], s59 // limit -= inc)
s_cmp_eq_u32 s[sgprShadowLimitA+1], 0              // are we within 2^32?
s_cselect_b32 s[sgprSrdA+2], s[sgprShadowLimitA+0], BufferLimitA // Move shadow to real if we are within 2^32
v_mfma_f64_16x16x4f64 a[144+0:151+0], v[vgprValuB_X1_I0+2+0+0:vgprValuB_X1_I0+2+0+0+1], v[vgprG2LA+100+0:vgprG2LA+100+0+1], a[144:151]
/*  mfmaIndex:62  */
/* localReadsVacancy: latencyLeft 5 */
v_mfma_f64_16x16x4f64 a[136+0:143+0], v[vgprValuB_X1_I0+2+0+0:vgprValuB_X1_I0+2+0+0+1], v[vgprG2LA+98+0:vgprG2LA+98+0+1], a[136:143]
/*  mfmaIndex:63  */
/* localReadsVacancy: latencyLeft 5 */
/* sched write - iter 1 writesPerItem=1 */
s_waitcnt vmcnt(0)                                 // lgkmcnt=-1 vmcnt=0wait for global read before writing to local
_ds_store_b64 v[vgprLocalWriteAddrB], v[vgprG2LB+0:vgprG2LB+0+1] offset:0 // lwoB_0_0_0_0 = (0*LSCB)*(MT1J+PAD) + (0*LSPB) = 0

/* local write swap offsets a */

/* (EPS=1) local write swap internal offset -> 4096 */

/* local write swap offsets b */

/* (EPS=1) local write swap internal offset -> 4096 */

/* local read swap offsets a */

/* local read swap offsets b */

/* local read swap internal offset -> 0 */

/* local read init pointers a */

/* local read init pointers b */

/* localReadInitPointers */
v_mfma_f64_16x16x4f64 a[128+0:135+0], v[vgprValuB_X1_I0+2+0+0:vgprValuB_X1_I0+2+0+0+1], v[vgprG2LA+96+0:vgprG2LA+96+0+1], a[128:135]
/* numPrefetchIter=0 */
/* dataAtIterA=1 numReadsIterA=2 skipReadsIterA=0 readsPerIterA=8 */
/* dataAtIterB=1 numReadsIterB=2 skipReadsIterB=0 readsPerIterB=2 */


/******************************************/
/* Unrolled Loop - End 2/2 (final)        */
/******************************************/


/* closeLoop loopL finalLoop=1 tailLoop=0 */
s_sub_u32 s[sgprLoopCounterL], s[sgprLoopCounterL], 1 // dec counterL
s_cmp_eq_i32 s[sgprLoopCounterL], 0x1              // counterL==1
s_cbranch_scc0 LoopBeginL_1                        // restart LoopL
LoopEndL_evenexit_4: // unroll loop eveniter exit
s_branch LoopEndL_2                                // exit unroll loopL (and skip second exit code)
LoopEndL_oddexit_3: // unroll loop odditer exit

/* Select high bank of LDS */
v_xor_b32 v[vgprLocalReadAddrB], 0x1000, v[vgprLocalReadAddrB] // swap Red Blk
LoopEndL_2:


/* Before NLL: Check VGPR.checkin for INT8 LW */


/******************************************/
/* Opt. NoLoadLoop Without PAP - Begin                                      */
/******************************************/

s_mov_b32 s58, s[sgprBeta+0]                       // tmp = Beta[0]
s_or_b32 s58, s[sgprBeta+1], s58                   // tmp |= Beta[1] 
s_cmpk_eq_u32 s58, 0x0                             // Beta == 0
s_cbranch_scc0 OptNLL_End_15                       // Branch if Beta is not zero

s_mov_b32 s58, 0                                   // Low part of double 1.0
s_mov_b32 s59, 0x3ff00000                          // High part of double 1.0
s_cmp_eq_u64 s[sgprAlpha:sgprAlpha+1], s[58:59]    // Alpha == 1.0 ?
s_cbranch_scc0 OptNLL_End_15                       // branch if alpha != 1

s_and_b32 s58, 1023, s[sgprSizeI]                  // s58 = s[sgprSizeI] % 1024
s_add_u32 s59, -0x1, s[sgprNumWorkGroups0]         // 
s_cmp_ge_u32 s[sgprWorkGroup0], s59                // wg0 >= nwg0-1 ?
s_cselect_b32 s58, s58, 0                          // set rMT0
s_cmpk_gt_u32 s58, 0x0                             // rMT0 > 0
s_cbranch_scc1 OptNLL_End_15                       // jump if edges required
s_and_b32 s58, 31, s[sgprSizeJ]                    // s58 = s[sgprSizeJ] % 32
s_add_u32 s59, -0x1, s[sgprNumWorkGroups1]         // 
s_cmp_ge_u32 s[sgprWorkGroup1], s59                // wg1 >= nwg1-1
s_cselect_b32 s58, s58, 0                          // set rMT1
s_cmpk_gt_u32 s58, 0x0                             // rMT1 > 0
s_cbranch_scc1 OptNLL_End_15                       // jump if edges required

s_and_b32 s59, 7, s[sgprSizesSum+0]                // s59 = s[sgprSizesSum+0] % 8
s_cmp_eq_u32 s59, 0x0                              // numIterL == 0
s_cbranch_scc0 OptNLL_End_15                       // skip if tail loop required

s_waitcnt lgkmcnt(0)                               // lgkmcnt=0 vmcnt=-14wait for local write

s_waitcnt lgkmcnt(0) & vmcnt(0)                    // force waitcnt0
s_barrier //

s_and_b32 s58, s[sgprOrigLoopCounter], 1           // test if OrigLoopCounter is Odd ?
s_cbranch_scc0 label_0016                          // Skip odd code if OrigLoopCounter is Even


	;; [unrolled: 1-line block ×3, first 2 shown]
/* iter 0 (last unrolled loop) */

s_waitcnt vmcnt(8)                                 // lgkmcnt=-1 vmcnt=8global read wait for DirectToVgpr

/*  grEndMfmaIndex:0, lwStartMfmaIndex:63, lwEndMfmaIndex:63  */
/*  numMfmaForLR:12, barrierMfmaIndex:0 */
/*  mfmaIndex:0  */
_ds_load_b64 v[vgprValuB_X0_I0+0:vgprValuB_X0_I0+0+1], v[vgprLocalReadAddrB] offset:0 // L -> Reg lro=0 swapByteOffset=0 ti=16 vIdx=0 rIdx=0 oIdx=0 buffer=0 iui=0
_ds_load_b64 v[vgprValuB_X0_I0+2:vgprValuB_X0_I0+2+1], v[vgprLocalReadAddrB] offset:1536 // L -> Reg lro=0 swapByteOffset=0 ti=16 vIdx=1 rIdx=0 oIdx=0 buffer=0 iui=0
/* localReadsVacancy: latencyLeft 1 */
s_waitcnt lgkmcnt(0)                               // lgkmcnt=0 vmcnt=-1wait for prior local read local write old=0, new=0 newLW=0 newLR=0
v_mfma_f64_16x16x4f64 a[0+0:7+0], v[vgprValuB_X0_I0+0+0+0:vgprValuB_X0_I0+0+0+0+1], v[vgprG2LA+0+0:vgprG2LA+0+0+1], a[0:7]
/*  mfmaIndex:1  */
/* localReadsVacancy: latencyLeft 5 */
_ds_load_b64 v[vgprValuB_X1_I0+0:vgprValuB_X1_I0+0+1], v[vgprLocalReadAddrB] offset:32 // L -> Reg lro=4 swapByteOffset=0 ti=16 vIdx=0 rIdx=0 oIdx=0 buffer=1 iui=0
_ds_load_b64 v[vgprValuB_X1_I0+2:vgprValuB_X1_I0+2+1], v[vgprLocalReadAddrB] offset:1568 // L -> Reg lro=4 swapByteOffset=0 ti=16 vIdx=1 rIdx=0 oIdx=0 buffer=1 iui=0
v_mfma_f64_16x16x4f64 a[8+0:15+0], v[vgprValuB_X0_I0+0+0+0:vgprValuB_X0_I0+0+0+0+1], v[vgprG2LA+2+0:vgprG2LA+2+0+1], a[8:15]
/*  mfmaIndex:2  */
/* localReadsVacancy: latencyLeft 5 */
v_mfma_f64_16x16x4f64 a[16+0:23+0], v[vgprValuB_X0_I0+0+0+0:vgprValuB_X0_I0+0+0+0+1], v[vgprG2LA+4+0:vgprG2LA+4+0+1], a[16:23]
/*  mfmaIndex:3  */
/* localReadsVacancy: latencyLeft 5 */
	;; [unrolled: 3-line block ×30, first 2 shown]
v_mfma_f64_16x16x4f64 a[128+0:135+0], v[vgprValuB_X0_I0+2+0+0:vgprValuB_X0_I0+2+0+0+1], v[vgprG2LA+0+0:vgprG2LA+0+0+1], a[128:135]
/* numPrefetchIter=0 */
/* dataAtIterA=0 numReadsIterA=1 skipReadsIterA=0 readsPerIterA=8 */
/* dataAtIterB=0 numReadsIterB=1 skipReadsIterB=0 readsPerIterB=2 */


/* iter 1 (last unrolled loop) */

s_waitcnt vmcnt(0)                                 // lgkmcnt=-1 vmcnt=0global read wait for DirectToVgpr

/*  grEndMfmaIndex:0, lwStartMfmaIndex:63, lwEndMfmaIndex:63  */
/*  numMfmaForLR:12, barrierMfmaIndex:0 */
/*  mfmaIndex:32  */
/* localReadsVacancy: latencyLeft 5 */
s_waitcnt lgkmcnt(0)                               // lgkmcnt=0 vmcnt=-1wait for prior local read local write old=0, new=0 newLW=0 newLR=0
v_mfma_f64_16x16x4f64 a[0+0:7+0], v[vgprValuB_X1_I0+0+0+0:vgprValuB_X1_I0+0+0+0+1], v[vgprG2LA+32+0:vgprG2LA+32+0+1], a[0:7]
/*  mfmaIndex:33  */
/* localReadsVacancy: latencyLeft 5 */
v_mfma_f64_16x16x4f64 a[8+0:15+0], v[vgprValuB_X1_I0+0+0+0:vgprValuB_X1_I0+0+0+0+1], v[vgprG2LA+34+0:vgprG2LA+34+0+1], a[8:15]
/*  mfmaIndex:34  */
/* localReadsVacancy: latencyLeft 5 */
	;; [unrolled: 3-line block ×31, first 2 shown]
v_mfma_f64_16x16x4f64 a[128+0:135+0], v[vgprValuB_X1_I0+2+0+0:vgprValuB_X1_I0+2+0+0+1], v[vgprG2LA+32+0:vgprG2LA+32+0+1], a[128:135]
/* numPrefetchIter=0 */
/* dataAtIterA=1 numReadsIterA=2 skipReadsIterA=0 readsPerIterA=8 */
/* dataAtIterB=1 numReadsIterB=2 skipReadsIterB=0 readsPerIterB=2 */

s_branch label_0017                                // Skip even code
label_0016: // EvenStartNoLoadLoopOpt 


	;; [unrolled: 1-line block ×3, first 2 shown]
/* iter 0 (last unrolled loop) */

s_waitcnt vmcnt(8)                                 // lgkmcnt=-1 vmcnt=8global read wait for DirectToVgpr

/*  grEndMfmaIndex:0, lwStartMfmaIndex:63, lwEndMfmaIndex:63  */
/*  numMfmaForLR:12, barrierMfmaIndex:0 */
/*  mfmaIndex:0  */
_ds_load_b64 v[vgprValuB_X0_I0+0:vgprValuB_X0_I0+0+1], v[vgprLocalReadAddrB] offset:0 // L -> Reg lro=0 swapByteOffset=0 ti=16 vIdx=0 rIdx=0 oIdx=0 buffer=0 iui=0
_ds_load_b64 v[vgprValuB_X0_I0+2:vgprValuB_X0_I0+2+1], v[vgprLocalReadAddrB] offset:1536 // L -> Reg lro=0 swapByteOffset=0 ti=16 vIdx=1 rIdx=0 oIdx=0 buffer=0 iui=0
/* localReadsVacancy: latencyLeft 1 */
s_waitcnt lgkmcnt(0)                               // lgkmcnt=0 vmcnt=-1wait for prior local read local write old=0, new=0 newLW=0 newLR=0
v_mfma_f64_16x16x4f64 a[0+0:7+0], v[vgprValuB_X0_I0+0+0+0:vgprValuB_X0_I0+0+0+0+1], v[vgprG2LA+64+0:vgprG2LA+64+0+1], a[0:7]
/*  mfmaIndex:1  */
/* localReadsVacancy: latencyLeft 5 */
_ds_load_b64 v[vgprValuB_X1_I0+0:vgprValuB_X1_I0+0+1], v[vgprLocalReadAddrB] offset:32 // L -> Reg lro=4 swapByteOffset=0 ti=16 vIdx=0 rIdx=0 oIdx=0 buffer=1 iui=0
_ds_load_b64 v[vgprValuB_X1_I0+2:vgprValuB_X1_I0+2+1], v[vgprLocalReadAddrB] offset:1568 // L -> Reg lro=4 swapByteOffset=0 ti=16 vIdx=1 rIdx=0 oIdx=0 buffer=1 iui=0
v_mfma_f64_16x16x4f64 a[8+0:15+0], v[vgprValuB_X0_I0+0+0+0:vgprValuB_X0_I0+0+0+0+1], v[vgprG2LA+66+0:vgprG2LA+66+0+1], a[8:15]
/*  mfmaIndex:2  */
/* localReadsVacancy: latencyLeft 5 */
v_mfma_f64_16x16x4f64 a[16+0:23+0], v[vgprValuB_X0_I0+0+0+0:vgprValuB_X0_I0+0+0+0+1], v[vgprG2LA+68+0:vgprG2LA+68+0+1], a[16:23]
/*  mfmaIndex:3  */
/* localReadsVacancy: latencyLeft 5 */
	;; [unrolled: 3-line block ×30, first 2 shown]
v_mfma_f64_16x16x4f64 a[128+0:135+0], v[vgprValuB_X0_I0+2+0+0:vgprValuB_X0_I0+2+0+0+1], v[vgprG2LA+64+0:vgprG2LA+64+0+1], a[128:135]
/* numPrefetchIter=0 */
/* dataAtIterA=0 numReadsIterA=1 skipReadsIterA=0 readsPerIterA=8 */
/* dataAtIterB=0 numReadsIterB=1 skipReadsIterB=0 readsPerIterB=2 */


/* iter 1 (last unrolled loop) */

s_waitcnt vmcnt(0)                                 // lgkmcnt=-1 vmcnt=0global read wait for DirectToVgpr

/*  grEndMfmaIndex:0, lwStartMfmaIndex:63, lwEndMfmaIndex:63  */
/*  numMfmaForLR:12, barrierMfmaIndex:0 */
/*  mfmaIndex:32  */
/* localReadsVacancy: latencyLeft 5 */
s_waitcnt lgkmcnt(0)                               // lgkmcnt=0 vmcnt=-1wait for prior local read local write old=0, new=0 newLW=0 newLR=0
v_mfma_f64_16x16x4f64 a[0+0:7+0], v[vgprValuB_X1_I0+0+0+0:vgprValuB_X1_I0+0+0+0+1], v[vgprG2LA+96+0:vgprG2LA+96+0+1], a[0:7]
/*  mfmaIndex:33  */
/* localReadsVacancy: latencyLeft 5 */
v_mfma_f64_16x16x4f64 a[8+0:15+0], v[vgprValuB_X1_I0+0+0+0:vgprValuB_X1_I0+0+0+0+1], v[vgprG2LA+98+0:vgprG2LA+98+0+1], a[8:15]
/*  mfmaIndex:34  */
/* localReadsVacancy: latencyLeft 5 */
	;; [unrolled: 3-line block ×31, first 2 shown]
v_mfma_f64_16x16x4f64 a[128+0:135+0], v[vgprValuB_X1_I0+2+0+0:vgprValuB_X1_I0+2+0+0+1], v[vgprG2LA+96+0:vgprG2LA+96+0+1], a[128:135]
/* numPrefetchIter=0 */
/* dataAtIterA=1 numReadsIterA=2 skipReadsIterA=0 readsPerIterA=8 */
/* dataAtIterB=1 numReadsIterB=2 skipReadsIterB=0 readsPerIterB=2 */

label_0017: // EvenEndNoLoadLoopOpt 

/* Stores for OptNLL */
Summation_End_OptNLL_18:
/* endSummation: add vgpr [0...156) to pool */
.set NumFullBlocks, UNDEF
.set WgmRemainder1, UNDEF
.set MagicNumberWgmRemainder1, UNDEF

/* Mapping of Acc register -> C Vgpr register */
/* computeStoreVgprs */
v_lshrrev_b32 v4, 6, v[vgprSerial]                 // v4 = v[vgprSerial] / 64
v_and_b32 v1, 63, v[vgprSerial]                    // v1 = v[vgprSerial] % 64
v_lshrrev_b32 v1, 4, v1                            // v1 = v1 / 16
                                                   // thread0 * continuous_output (multiplier is 1, do nothing)
v_lshrrev_b32 v5, 2, v4                            // v5 = v4 / 4
v_mul_lo_u32 v5, 0x10, v5                          // wave coordination offset 1
_v_add_lshl_u32 v1, v5, v1, 0                      // coordination 1 = vwb *(wave_id1 + tid1)
v_mul_lo_u32 v2, v1, s[sgprStrideC1J]              //  offset 1
v_mul_lo_u32 v3, v1, s[sgprStrideD1J]              //  offset 1
v_and_b32 v5, 3, v4                                // v5 = v4 % 4
v_mul_lo_u32 v5, 0x10, v5                          // wave coordination offset 0
v_and_b32 v0, 15, v[vgprSerial]                    // v0 = v[vgprSerial] % 16
_v_add_lshl_u32 v0, v5, v0, 1                      // coordination 0 = vwa *(wave_id0 + tid0)
s_mul_i32 s55, 1024, s[sgprWorkGroup0]             // wgp0 * MT0
_v_add_u32 v0, s55, v0                             // coord 0 = (tid0/MI_m)*4 + waveG0*MIB_m + MT0*SG0
s_mul_i32 s55, 32, s[sgprWorkGroup1]               // wgp1 * MT1
_v_add_u32 v1, s55, v1                             // coord 1 = (tid0%MI_m) + waveG1*MIB_n + MT1*SG1
GW_B0_E0_21:

/* edge=0, allocate 2 sgpr. perBatchTmpS=2 perBatchMaskS=0 perElementMaskS=0 elementsPerBatch=61 */
/* optSingleColVgpr=1 optSharedColVgpr=0 optSGPRUsage=BufferLoad_Mask optSrdIncForRow=1 */

/******************************************/
/* Global Write Batch #0 (d1,d0,vc1,vc0) = */
/*    (0,0,0,0:vw2); (0,1,0,0:vw2); (0,2,0,0:vw2); (0,3,0,0:vw2); (0,4,0,0:vw2); (0,5,0,0:vw2); (0,6,0,0:vw2); (0,7,0,0:vw2); (1,0,0,0:vw2); (1,1,0,0:vw2); (1,2,0,0:vw2); (1,3,0,0:vw2); (1,4,0,0:vw2); (1,5,0,0:vw2); (1,6,0,0:vw2); (1,7,0,0:vw2); (2,0,0,0:vw2); (2,1,0,0:vw2); (2,2,0,0:vw2); (2,3,0,0:vw2); (2,4,0,0:vw2); (2,5,0,0:vw2); (2,6,0,0:vw2); (2,7,0,0:vw2); (3,0,0,0:vw2); (3,1,0,0:vw2); (3,2,0,0:vw2); (3,3,0,0:vw2); (3,4,0,0:vw2); (3,5,0,0:vw2); (3,6,0,0:vw2); (3,7,0,0:vw2); (4,0,0,0:vw2); (4,1,0,0:vw2); (4,2,0,0:vw2); (4,3,0,0:vw2); (4,4,0,0:vw2); (4,5,0,0:vw2); (4,6,0,0:vw2); (4,7,0,0:vw2); (5,0,0,0:vw2); (5,1,0,0:vw2); (5,2,0,0:vw2); (5,3,0,0:vw2); (5,4,0,0:vw2); (5,5,0,0:vw2); (5,6,0,0:vw2); (5,7,0,0:vw2); (6,0,0,0:vw2); (6,1,0,0:vw2); (6,2,0,0:vw2); (6,3,0,0:vw2); (6,4,0,0:vw2); (6,5,0,0:vw2); (6,6,0,0:vw2); (6,7,0,0:vw2); (7,0,0,0:vw2); (7,1,0,0:vw2); (7,2,0,0:vw2); (7,3,0,0:vw2); (7,4,0,0:vw2) */
/******************************************/

/* calc coords, apply mask, and issue loads (if necessary) */
/* (d1,vc1,d0,vc0)=(0,0,0,0) */
/* (d1,vc1,d0,vc0)=(0,0,1,0) */
	;; [unrolled: 1-line block ×61, first 2 shown]
_v_add_lshl_u32 v6, v3, v0, 0x3                    // optSingleColVgpr scaleToBpe: sharedAddrVgpr <- cinRowPtr + coord0, scaled by BPE. BSHERE:coord0=0, coord0Vgpr=0
v_accvgpr_read_b32 v[vgprValuC+8], acc0 // copy acc to vreg[0]
v_accvgpr_read_b32 v[vgprValuC+9], acc1 // copy acc to vreg[1]
v_accvgpr_read_b32 v[vgprValuC+10], acc8 // copy acc to vreg[2]
v_accvgpr_read_b32 v[vgprValuC+11], acc9 // copy acc to vreg[3]
v_accvgpr_read_b32 v[vgprValuC+12], acc16 // copy acc to vreg[4]
v_accvgpr_read_b32 v[vgprValuC+13], acc17 // copy acc to vreg[5]
v_accvgpr_read_b32 v[vgprValuC+14], acc24 // copy acc to vreg[6]
v_accvgpr_read_b32 v[vgprValuC+15], acc25 // copy acc to vreg[7]
v_accvgpr_read_b32 v[vgprValuC+16], acc32 // copy acc to vreg[8]
v_accvgpr_read_b32 v[vgprValuC+17], acc33 // copy acc to vreg[9]
v_accvgpr_read_b32 v[vgprValuC+18], acc40 // copy acc to vreg[10]
v_accvgpr_read_b32 v[vgprValuC+19], acc41 // copy acc to vreg[11]
v_accvgpr_read_b32 v[vgprValuC+20], acc48 // copy acc to vreg[12]
v_accvgpr_read_b32 v[vgprValuC+21], acc49 // copy acc to vreg[13]
v_accvgpr_read_b32 v[vgprValuC+22], acc56 // copy acc to vreg[14]
v_accvgpr_read_b32 v[vgprValuC+23], acc57 // copy acc to vreg[15]
v_accvgpr_read_b32 v[vgprValuC+24], acc64 // copy acc to vreg[16]
v_accvgpr_read_b32 v[vgprValuC+25], acc65 // copy acc to vreg[17]
v_accvgpr_read_b32 v[vgprValuC+26], acc72 // copy acc to vreg[18]
v_accvgpr_read_b32 v[vgprValuC+27], acc73 // copy acc to vreg[19]
v_accvgpr_read_b32 v[vgprValuC+28], acc80 // copy acc to vreg[20]
v_accvgpr_read_b32 v[vgprValuC+29], acc81 // copy acc to vreg[21]
v_accvgpr_read_b32 v[vgprValuC+30], acc88 // copy acc to vreg[22]
v_accvgpr_read_b32 v[vgprValuC+31], acc89 // copy acc to vreg[23]
v_accvgpr_read_b32 v[vgprValuC+32], acc96 // copy acc to vreg[24]
v_accvgpr_read_b32 v[vgprValuC+33], acc97 // copy acc to vreg[25]
v_accvgpr_read_b32 v[vgprValuC+34], acc104 // copy acc to vreg[26]
v_accvgpr_read_b32 v[vgprValuC+35], acc105 // copy acc to vreg[27]
v_accvgpr_read_b32 v[vgprValuC+36], acc112 // copy acc to vreg[28]
v_accvgpr_read_b32 v[vgprValuC+37], acc113 // copy acc to vreg[29]
v_accvgpr_read_b32 v[vgprValuC+38], acc120 // copy acc to vreg[30]
v_accvgpr_read_b32 v[vgprValuC+39], acc121 // copy acc to vreg[31]
v_accvgpr_read_b32 v[vgprValuC+40], acc2 // copy acc to vreg[32]
v_accvgpr_read_b32 v[vgprValuC+41], acc3 // copy acc to vreg[33]
v_accvgpr_read_b32 v[vgprValuC+42], acc10 // copy acc to vreg[34]
v_accvgpr_read_b32 v[vgprValuC+43], acc11 // copy acc to vreg[35]
v_accvgpr_read_b32 v[vgprValuC+44], acc18 // copy acc to vreg[36]
v_accvgpr_read_b32 v[vgprValuC+45], acc19 // copy acc to vreg[37]
v_accvgpr_read_b32 v[vgprValuC+46], acc26 // copy acc to vreg[38]
v_accvgpr_read_b32 v[vgprValuC+47], acc27 // copy acc to vreg[39]
v_accvgpr_read_b32 v[vgprValuC+48], acc34 // copy acc to vreg[40]
v_accvgpr_read_b32 v[vgprValuC+49], acc35 // copy acc to vreg[41]
v_accvgpr_read_b32 v[vgprValuC+50], acc42 // copy acc to vreg[42]
v_accvgpr_read_b32 v[vgprValuC+51], acc43 // copy acc to vreg[43]
v_accvgpr_read_b32 v[vgprValuC+52], acc50 // copy acc to vreg[44]
v_accvgpr_read_b32 v[vgprValuC+53], acc51 // copy acc to vreg[45]
v_accvgpr_read_b32 v[vgprValuC+54], acc58 // copy acc to vreg[46]
v_accvgpr_read_b32 v[vgprValuC+55], acc59 // copy acc to vreg[47]
v_accvgpr_read_b32 v[vgprValuC+56], acc66 // copy acc to vreg[48]
v_accvgpr_read_b32 v[vgprValuC+57], acc67 // copy acc to vreg[49]
v_accvgpr_read_b32 v[vgprValuC+58], acc74 // copy acc to vreg[50]
v_accvgpr_read_b32 v[vgprValuC+59], acc75 // copy acc to vreg[51]
v_accvgpr_read_b32 v[vgprValuC+60], acc82 // copy acc to vreg[52]
v_accvgpr_read_b32 v[vgprValuC+61], acc83 // copy acc to vreg[53]
v_accvgpr_read_b32 v[vgprValuC+62], acc90 // copy acc to vreg[54]
v_accvgpr_read_b32 v[vgprValuC+63], acc91 // copy acc to vreg[55]
v_accvgpr_read_b32 v[vgprValuC+64], acc98 // copy acc to vreg[56]
v_accvgpr_read_b32 v[vgprValuC+65], acc99 // copy acc to vreg[57]
v_accvgpr_read_b32 v[vgprValuC+66], acc106 // copy acc to vreg[58]
v_accvgpr_read_b32 v[vgprValuC+67], acc107 // copy acc to vreg[59]
v_accvgpr_read_b32 v[vgprValuC+68], acc114 // copy acc to vreg[60]
v_accvgpr_read_b32 v[vgprValuC+69], acc115 // copy acc to vreg[61]
v_accvgpr_read_b32 v[vgprValuC+70], acc122 // copy acc to vreg[62]
v_accvgpr_read_b32 v[vgprValuC+71], acc123 // copy acc to vreg[63]
v_accvgpr_read_b32 v[vgprValuC+72], acc4 // copy acc to vreg[64]
v_accvgpr_read_b32 v[vgprValuC+73], acc5 // copy acc to vreg[65]
v_accvgpr_read_b32 v[vgprValuC+74], acc12 // copy acc to vreg[66]
v_accvgpr_read_b32 v[vgprValuC+75], acc13 // copy acc to vreg[67]
v_accvgpr_read_b32 v[vgprValuC+76], acc20 // copy acc to vreg[68]
v_accvgpr_read_b32 v[vgprValuC+77], acc21 // copy acc to vreg[69]
v_accvgpr_read_b32 v[vgprValuC+78], acc28 // copy acc to vreg[70]
v_accvgpr_read_b32 v[vgprValuC+79], acc29 // copy acc to vreg[71]
v_accvgpr_read_b32 v[vgprValuC+80], acc36 // copy acc to vreg[72]
v_accvgpr_read_b32 v[vgprValuC+81], acc37 // copy acc to vreg[73]
v_accvgpr_read_b32 v[vgprValuC+82], acc44 // copy acc to vreg[74]
v_accvgpr_read_b32 v[vgprValuC+83], acc45 // copy acc to vreg[75]
v_accvgpr_read_b32 v[vgprValuC+84], acc52 // copy acc to vreg[76]
v_accvgpr_read_b32 v[vgprValuC+85], acc53 // copy acc to vreg[77]
v_accvgpr_read_b32 v[vgprValuC+86], acc60 // copy acc to vreg[78]
v_accvgpr_read_b32 v[vgprValuC+87], acc61 // copy acc to vreg[79]
v_accvgpr_read_b32 v[vgprValuC+88], acc68 // copy acc to vreg[80]
v_accvgpr_read_b32 v[vgprValuC+89], acc69 // copy acc to vreg[81]
v_accvgpr_read_b32 v[vgprValuC+90], acc76 // copy acc to vreg[82]
v_accvgpr_read_b32 v[vgprValuC+91], acc77 // copy acc to vreg[83]
v_accvgpr_read_b32 v[vgprValuC+92], acc84 // copy acc to vreg[84]
v_accvgpr_read_b32 v[vgprValuC+93], acc85 // copy acc to vreg[85]
v_accvgpr_read_b32 v[vgprValuC+94], acc92 // copy acc to vreg[86]
v_accvgpr_read_b32 v[vgprValuC+95], acc93 // copy acc to vreg[87]
v_accvgpr_read_b32 v[vgprValuC+96], acc100 // copy acc to vreg[88]
v_accvgpr_read_b32 v[vgprValuC+97], acc101 // copy acc to vreg[89]
v_accvgpr_read_b32 v[vgprValuC+98], acc108 // copy acc to vreg[90]
v_accvgpr_read_b32 v[vgprValuC+99], acc109 // copy acc to vreg[91]
v_accvgpr_read_b32 v[vgprValuC+100], acc116 // copy acc to vreg[92]
v_accvgpr_read_b32 v[vgprValuC+101], acc117 // copy acc to vreg[93]
v_accvgpr_read_b32 v[vgprValuC+102], acc124 // copy acc to vreg[94]
v_accvgpr_read_b32 v[vgprValuC+103], acc125 // copy acc to vreg[95]
v_accvgpr_read_b32 v[vgprValuC+104], acc6 // copy acc to vreg[96]
v_accvgpr_read_b32 v[vgprValuC+105], acc7 // copy acc to vreg[97]
v_accvgpr_read_b32 v[vgprValuC+106], acc14 // copy acc to vreg[98]
v_accvgpr_read_b32 v[vgprValuC+107], acc15 // copy acc to vreg[99]
v_accvgpr_read_b32 v[vgprValuC+108], acc22 // copy acc to vreg[100]
v_accvgpr_read_b32 v[vgprValuC+109], acc23 // copy acc to vreg[101]
v_accvgpr_read_b32 v[vgprValuC+110], acc30 // copy acc to vreg[102]
v_accvgpr_read_b32 v[vgprValuC+111], acc31 // copy acc to vreg[103]
v_accvgpr_read_b32 v[vgprValuC+112], acc38 // copy acc to vreg[104]
v_accvgpr_read_b32 v[vgprValuC+113], acc39 // copy acc to vreg[105]
v_accvgpr_read_b32 v[vgprValuC+114], acc46 // copy acc to vreg[106]
v_accvgpr_read_b32 v[vgprValuC+115], acc47 // copy acc to vreg[107]
v_accvgpr_read_b32 v[vgprValuC+116], acc54 // copy acc to vreg[108]
v_accvgpr_read_b32 v[vgprValuC+117], acc55 // copy acc to vreg[109]
v_accvgpr_read_b32 v[vgprValuC+118], acc62 // copy acc to vreg[110]
v_accvgpr_read_b32 v[vgprValuC+119], acc63 // copy acc to vreg[111]
v_accvgpr_read_b32 v[vgprValuC+120], acc70 // copy acc to vreg[112]
v_accvgpr_read_b32 v[vgprValuC+121], acc71 // copy acc to vreg[113]
v_accvgpr_read_b32 v[vgprValuC+122], acc78 // copy acc to vreg[114]
v_accvgpr_read_b32 v[vgprValuC+123], acc79 // copy acc to vreg[115]
v_accvgpr_read_b32 v[vgprValuC+124], acc86 // copy acc to vreg[116]
v_accvgpr_read_b32 v[vgprValuC+125], acc87 // copy acc to vreg[117]
v_accvgpr_read_b32 v[vgprValuC+126], acc94 // copy acc to vreg[118]
v_accvgpr_read_b32 v[vgprValuC+127], acc95 // copy acc to vreg[119]
v_accvgpr_read_b32 v[vgprValuC+128], acc102 // copy acc to vreg[120]
v_accvgpr_read_b32 v[vgprValuC+129], acc103 // copy acc to vreg[121]
v_accvgpr_read_b32 v[vgprValuC+130], acc110 // copy acc to vreg[122]
v_accvgpr_read_b32 v[vgprValuC+131], acc111 // copy acc to vreg[123]
v_accvgpr_read_b32 v[vgprValuC+132], acc118 // copy acc to vreg[124]
v_accvgpr_read_b32 v[vgprValuC+133], acc119 // copy acc to vreg[125]
v_accvgpr_read_b32 v[vgprValuC+134], acc126 // copy acc to vreg[126]
v_accvgpr_read_b32 v[vgprValuC+135], acc127 // copy acc to vreg[127]
v_accvgpr_read_b32 v[vgprValuC+136], acc128 // copy acc to vreg[128]
v_accvgpr_read_b32 v[vgprValuC+137], acc129 // copy acc to vreg[129]
v_accvgpr_read_b32 v[vgprValuC+138], acc136 // copy acc to vreg[130]
v_accvgpr_read_b32 v[vgprValuC+139], acc137 // copy acc to vreg[131]
v_accvgpr_read_b32 v[vgprValuC+140], acc144 // copy acc to vreg[132]
v_accvgpr_read_b32 v[vgprValuC+141], acc145 // copy acc to vreg[133]
v_accvgpr_read_b32 v[vgprValuC+142], acc152 // copy acc to vreg[134]
v_accvgpr_read_b32 v[vgprValuC+143], acc153 // copy acc to vreg[135]
v_accvgpr_read_b32 v[vgprValuC+144], acc160 // copy acc to vreg[136]
v_accvgpr_read_b32 v[vgprValuC+145], acc161 // copy acc to vreg[137]
v_accvgpr_read_b32 v[vgprValuC+146], acc168 // copy acc to vreg[138]
v_accvgpr_read_b32 v[vgprValuC+147], acc169 // copy acc to vreg[139]
v_accvgpr_read_b32 v[vgprValuC+148], acc176 // copy acc to vreg[140]
v_accvgpr_read_b32 v[vgprValuC+149], acc177 // copy acc to vreg[141]
v_accvgpr_read_b32 v[vgprValuC+150], acc184 // copy acc to vreg[142]
v_accvgpr_read_b32 v[vgprValuC+151], acc185 // copy acc to vreg[143]
v_accvgpr_read_b32 v[vgprValuC+152], acc192 // copy acc to vreg[144]
v_accvgpr_read_b32 v[vgprValuC+153], acc193 // copy acc to vreg[145]
v_accvgpr_read_b32 v[vgprValuC+154], acc200 // copy acc to vreg[146]
v_accvgpr_read_b32 v[vgprValuC+155], acc201 // copy acc to vreg[147]
v_accvgpr_read_b32 v[vgprValuC+160], acc208 // copy acc to vreg[148]
v_accvgpr_read_b32 v[vgprValuC+161], acc209 // copy acc to vreg[149]
v_accvgpr_read_b32 v[vgprValuC+162], acc216 // copy acc to vreg[150]
v_accvgpr_read_b32 v[vgprValuC+163], acc217 // copy acc to vreg[151]
v_accvgpr_read_b32 v[vgprValuC+164], acc224 // copy acc to vreg[152]
v_accvgpr_read_b32 v[vgprValuC+165], acc225 // copy acc to vreg[153]
v_accvgpr_read_b32 v[vgprValuC+166], acc232 // copy acc to vreg[154]
v_accvgpr_read_b32 v[vgprValuC+167], acc233 // copy acc to vreg[155]
v_accvgpr_read_b32 v[vgprValuC+168], acc240 // copy acc to vreg[156]
v_accvgpr_read_b32 v[vgprValuC+169], acc241 // copy acc to vreg[157]
v_accvgpr_read_b32 v[vgprValuC+170], acc248 // copy acc to vreg[158]
v_accvgpr_read_b32 v[vgprValuC+171], acc249 // copy acc to vreg[159]
v_accvgpr_read_b32 v[vgprValuC+172], acc130 // copy acc to vreg[160]
v_accvgpr_read_b32 v[vgprValuC+173], acc131 // copy acc to vreg[161]
v_accvgpr_read_b32 v[vgprValuC+174], acc138 // copy acc to vreg[162]
v_accvgpr_read_b32 v[vgprValuC+175], acc139 // copy acc to vreg[163]
v_accvgpr_read_b32 v[vgprValuC+176], acc146 // copy acc to vreg[164]
v_accvgpr_read_b32 v[vgprValuC+177], acc147 // copy acc to vreg[165]
v_accvgpr_read_b32 v[vgprValuC+178], acc154 // copy acc to vreg[166]
v_accvgpr_read_b32 v[vgprValuC+179], acc155 // copy acc to vreg[167]
v_accvgpr_read_b32 v[vgprValuC+180], acc162 // copy acc to vreg[168]
v_accvgpr_read_b32 v[vgprValuC+181], acc163 // copy acc to vreg[169]
v_accvgpr_read_b32 v[vgprValuC+182], acc170 // copy acc to vreg[170]
v_accvgpr_read_b32 v[vgprValuC+183], acc171 // copy acc to vreg[171]
v_accvgpr_read_b32 v[vgprValuC+184], acc178 // copy acc to vreg[172]
v_accvgpr_read_b32 v[vgprValuC+185], acc179 // copy acc to vreg[173]
v_accvgpr_read_b32 v[vgprValuC+186], acc186 // copy acc to vreg[174]
v_accvgpr_read_b32 v[vgprValuC+187], acc187 // copy acc to vreg[175]
v_accvgpr_read_b32 v[vgprValuC+188], acc194 // copy acc to vreg[176]
v_accvgpr_read_b32 v[vgprValuC+189], acc195 // copy acc to vreg[177]
v_accvgpr_read_b32 v[vgprValuC+190], acc202 // copy acc to vreg[178]
v_accvgpr_read_b32 v[vgprValuC+191], acc203 // copy acc to vreg[179]
v_accvgpr_read_b32 v[vgprValuC+192], acc210 // copy acc to vreg[180]
v_accvgpr_read_b32 v[vgprValuC+193], acc211 // copy acc to vreg[181]
v_accvgpr_read_b32 v[vgprValuC+194], acc218 // copy acc to vreg[182]
v_accvgpr_read_b32 v[vgprValuC+195], acc219 // copy acc to vreg[183]
v_accvgpr_read_b32 v[vgprValuC+196], acc226 // copy acc to vreg[184]
v_accvgpr_read_b32 v[vgprValuC+197], acc227 // copy acc to vreg[185]
v_accvgpr_read_b32 v[vgprValuC+198], acc234 // copy acc to vreg[186]
v_accvgpr_read_b32 v[vgprValuC+199], acc235 // copy acc to vreg[187]
v_accvgpr_read_b32 v[vgprValuC+200], acc242 // copy acc to vreg[188]
v_accvgpr_read_b32 v[vgprValuC+201], acc243 // copy acc to vreg[189]
v_accvgpr_read_b32 v[vgprValuC+202], acc250 // copy acc to vreg[190]
v_accvgpr_read_b32 v[vgprValuC+203], acc251 // copy acc to vreg[191]
v_accvgpr_read_b32 v[vgprValuC+204], acc132 // copy acc to vreg[192]
v_accvgpr_read_b32 v[vgprValuC+205], acc133 // copy acc to vreg[193]
v_accvgpr_read_b32 v[vgprValuC+206], acc140 // copy acc to vreg[194]
v_accvgpr_read_b32 v[vgprValuC+207], acc141 // copy acc to vreg[195]
v_accvgpr_read_b32 v[vgprValuC+208], acc148 // copy acc to vreg[196]
v_accvgpr_read_b32 v[vgprValuC+209], acc149 // copy acc to vreg[197]
v_accvgpr_read_b32 v[vgprValuC+210], acc156 // copy acc to vreg[198]
v_accvgpr_read_b32 v[vgprValuC+211], acc157 // copy acc to vreg[199]
v_accvgpr_read_b32 v[vgprValuC+212], acc164 // copy acc to vreg[200]
v_accvgpr_read_b32 v[vgprValuC+213], acc165 // copy acc to vreg[201]
v_accvgpr_read_b32 v[vgprValuC+214], acc172 // copy acc to vreg[202]
v_accvgpr_read_b32 v[vgprValuC+215], acc173 // copy acc to vreg[203]
v_accvgpr_read_b32 v[vgprValuC+216], acc180 // copy acc to vreg[204]
v_accvgpr_read_b32 v[vgprValuC+217], acc181 // copy acc to vreg[205]
v_accvgpr_read_b32 v[vgprValuC+218], acc188 // copy acc to vreg[206]
v_accvgpr_read_b32 v[vgprValuC+219], acc189 // copy acc to vreg[207]
v_accvgpr_read_b32 v[vgprValuC+220], acc196 // copy acc to vreg[208]
v_accvgpr_read_b32 v[vgprValuC+221], acc197 // copy acc to vreg[209]
v_accvgpr_read_b32 v[vgprValuC+222], acc204 // copy acc to vreg[210]
v_accvgpr_read_b32 v[vgprValuC+223], acc205 // copy acc to vreg[211]
v_accvgpr_read_b32 v[vgprValuC+224], acc212 // copy acc to vreg[212]
v_accvgpr_read_b32 v[vgprValuC+225], acc213 // copy acc to vreg[213]
v_accvgpr_read_b32 v[vgprValuC+226], acc220 // copy acc to vreg[214]
v_accvgpr_read_b32 v[vgprValuC+227], acc221 // copy acc to vreg[215]
v_accvgpr_read_b32 v[vgprValuC+228], acc228 // copy acc to vreg[216]
v_accvgpr_read_b32 v[vgprValuC+229], acc229 // copy acc to vreg[217]
v_accvgpr_read_b32 v[vgprValuC+230], acc236 // copy acc to vreg[218]
v_accvgpr_read_b32 v[vgprValuC+231], acc237 // copy acc to vreg[219]
v_accvgpr_read_b32 v[vgprValuC+232], acc244 // copy acc to vreg[220]
v_accvgpr_read_b32 v[vgprValuC+233], acc245 // copy acc to vreg[221]
v_accvgpr_read_b32 v[vgprValuC+234], acc252 // copy acc to vreg[222]
v_accvgpr_read_b32 v[vgprValuC+235], acc253 // copy acc to vreg[223]
v_accvgpr_read_b32 v[vgprValuC+236], acc134 // copy acc to vreg[224]
v_accvgpr_read_b32 v[vgprValuC+237], acc135 // copy acc to vreg[225]
v_accvgpr_read_b32 v[vgprValuC+238], acc142 // copy acc to vreg[226]
v_accvgpr_read_b32 v[vgprValuC+239], acc143 // copy acc to vreg[227]
v_accvgpr_read_b32 v[vgprValuC+240], acc150 // copy acc to vreg[228]
v_accvgpr_read_b32 v[vgprValuC+241], acc151 // copy acc to vreg[229]
v_accvgpr_read_b32 v[vgprValuC+242], acc158 // copy acc to vreg[230]
v_accvgpr_read_b32 v[vgprValuC+243], acc159 // copy acc to vreg[231]
v_accvgpr_read_b32 v[vgprValuC+244], acc166 // copy acc to vreg[232]
v_accvgpr_read_b32 v[vgprValuC+245], acc167 // copy acc to vreg[233]
v_accvgpr_read_b32 v[vgprValuC+246], acc174 // copy acc to vreg[234]
v_accvgpr_read_b32 v[vgprValuC+247], acc175 // copy acc to vreg[235]
v_accvgpr_read_b32 v[vgprValuC+248], acc182 // copy acc to vreg[236]
v_accvgpr_read_b32 v[vgprValuC+249], acc183 // copy acc to vreg[237]
v_accvgpr_read_b32 v[vgprValuC+250], acc190 // copy acc to vreg[238]
v_accvgpr_read_b32 v[vgprValuC+251], acc191 // copy acc to vreg[239]
v_accvgpr_read_b32 v[vgprValuC+252], acc198 // copy acc to vreg[240]
v_accvgpr_read_b32 v[vgprValuC+253], acc199 // copy acc to vreg[241]
v_accvgpr_read_b32 v[vgprValuC+254], acc206 // copy acc to vreg[242]
v_accvgpr_read_b32 v[vgprValuC+255], acc207 // copy acc to vreg[243]
s_nop 1                                            // 2 wait states required before reading vgpr

/* apply mask, calc new C and issue writes */
_buffer_store_b128 v[8:11], v6, s[sgprSrdD:sgprSrdD+3], 0, offen, offset:0 // store D
_buffer_store_b128 v[12:15], v6, s[sgprSrdD:sgprSrdD+3], 0, offen, offset:1024 // store D
_buffer_store_b128 v[16:19], v6, s[sgprSrdD:sgprSrdD+3], 0, offen, offset:2048 // store D
_buffer_store_b128 v[20:23], v6, s[sgprSrdD:sgprSrdD+3], 0, offen, offset:3072 // store D
s_mov_b32 s55, 4096                                // large offset
_buffer_store_b128 v[24:27], v6, s[sgprSrdD:sgprSrdD+3], s55, offen, offset:0 // store D
s_mov_b32 s55, 5120                                // large offset
_buffer_store_b128 v[28:31], v6, s[sgprSrdD:sgprSrdD+3], s55, offen, offset:0 // store D
s_mov_b32 s55, 6144                                // large offset
_buffer_store_b128 v[32:35], v6, s[sgprSrdD:sgprSrdD+3], s55, offen, offset:0 // store D
s_mov_b32 s55, 7168                                // large offset
_buffer_store_b128 v[36:39], v6, s[sgprSrdD:sgprSrdD+3], s55, offen, offset:0 // store D
s_mul_i32 s56, s[sgprStrideD1J], 32                // scale StrideD *= numRows(4) * bpe
s_add_u32  s[sgprSrdD+0], s[sgprSrdD+0], s56       // incToNextRow: gra SRD += inc(lower)
s_addc_u32  s[sgprSrdD+1], s[sgprSrdD+1], 0        // incToNextRow: gra SRD += inc(upper)
_buffer_store_b128 v[40:43], v6, s[sgprSrdD:sgprSrdD+3], 0, offen, offset:0 // store D
_buffer_store_b128 v[44:47], v6, s[sgprSrdD:sgprSrdD+3], 0, offen, offset:1024 // store D
_buffer_store_b128 v[48:51], v6, s[sgprSrdD:sgprSrdD+3], 0, offen, offset:2048 // store D
_buffer_store_b128 v[52:55], v6, s[sgprSrdD:sgprSrdD+3], 0, offen, offset:3072 // store D
s_mov_b32 s55, 4096                                // large offset
_buffer_store_b128 v[56:59], v6, s[sgprSrdD:sgprSrdD+3], s55, offen, offset:0 // store D
s_mov_b32 s55, 5120                                // large offset
_buffer_store_b128 v[60:63], v6, s[sgprSrdD:sgprSrdD+3], s55, offen, offset:0 // store D
s_mov_b32 s55, 6144                                // large offset
_buffer_store_b128 v[64:67], v6, s[sgprSrdD:sgprSrdD+3], s55, offen, offset:0 // store D
s_mov_b32 s55, 7168                                // large offset
_buffer_store_b128 v[68:71], v6, s[sgprSrdD:sgprSrdD+3], s55, offen, offset:0 // store D
s_mul_i32 s56, s[sgprStrideD1J], 32                // scale StrideD *= numRows(4) * bpe
s_add_u32  s[sgprSrdD+0], s[sgprSrdD+0], s56       // incToNextRow: gra SRD += inc(lower)
s_addc_u32  s[sgprSrdD+1], s[sgprSrdD+1], 0        // incToNextRow: gra SRD += inc(upper)
	;; [unrolled: 15-line block ×7, first 2 shown]
_buffer_store_b128 v[236:239], v6, s[sgprSrdD:sgprSrdD+3], 0, offen, offset:0 // store D
_buffer_store_b128 v[240:243], v6, s[sgprSrdD:sgprSrdD+3], 0, offen, offset:1024 // store D
	;; [unrolled: 1-line block ×4, first 2 shown]
s_mov_b32 s55, 4096                                // large offset
_buffer_store_b128 v[252:255], v6, s[sgprSrdD:sgprSrdD+3], s55, offen, offset:0 // store D
s_nop 0                                            // 1 wait state required when next inst writes vgprs held by previous dwordx4 store inst
/* optSingleColVgpr=1 optSharedColVgpr=0 optSGPRUsage=BufferLoad_Mask optSrdIncForRow=1 */

/******************************************/
/* Global Write Batch #1 (d1,d0,vc1,vc0) = */
/*    (7,5,0,0:vw2); (7,6,0,0:vw2); (7,7,0,0:vw2) */
/******************************************/

/* calc coords, apply mask, and issue loads (if necessary) */
/* (d1,vc1,d0,vc0)=(7,0,5,0) */
/* (d1,vc1,d0,vc0)=(7,0,6,0) */
	;; [unrolled: 1-line block ×3, first 2 shown]
v_accvgpr_read_b32 v[vgprValuC+8], acc214 // copy acc to vreg[244]
v_accvgpr_read_b32 v[vgprValuC+9], acc215 // copy acc to vreg[245]
v_accvgpr_read_b32 v[vgprValuC+10], acc222 // copy acc to vreg[246]
v_accvgpr_read_b32 v[vgprValuC+11], acc223 // copy acc to vreg[247]
v_accvgpr_read_b32 v[vgprValuC+12], acc230 // copy acc to vreg[248]
v_accvgpr_read_b32 v[vgprValuC+13], acc231 // copy acc to vreg[249]
v_accvgpr_read_b32 v[vgprValuC+14], acc238 // copy acc to vreg[250]
v_accvgpr_read_b32 v[vgprValuC+15], acc239 // copy acc to vreg[251]
v_accvgpr_read_b32 v[vgprValuC+16], acc246 // copy acc to vreg[252]
v_accvgpr_read_b32 v[vgprValuC+17], acc247 // copy acc to vreg[253]
v_accvgpr_read_b32 v[vgprValuC+18], acc254 // copy acc to vreg[254]
v_accvgpr_read_b32 v[vgprValuC+19], acc255 // copy acc to vreg[255]
s_nop 1                                            // 2 wait states required before reading vgpr

/* apply mask, calc new C and issue writes */
s_mov_b32 s55, 5120                                // large offset
_buffer_store_b128 v[8:11], v6, s[sgprSrdD:sgprSrdD+3], s55, offen, offset:0 // store D
s_mov_b32 s55, 6144                                // large offset
_buffer_store_b128 v[12:15], v6, s[sgprSrdD:sgprSrdD+3], s55, offen, offset:0 // store D
	;; [unrolled: 2-line block ×3, first 2 shown]
s_nop 0                                            // 1 wait state required when next inst writes vgprs held by previous dwordx4 store inst
s_branch label_GW_End_23                           // jump to end
label_GW_End_23:

s_endpgm                                           // Kernel End
OptNLL_End_15:


/******************************************/
/* Ord. NoLoadLoop - Begin                                      */
/******************************************/


s_waitcnt lgkmcnt(0)                               // lgkmcnt=0 vmcnt=-14wait for local write

s_waitcnt lgkmcnt(0) & vmcnt(0)                    // force waitcnt0
s_barrier //

s_and_b32 s58, s[sgprOrigLoopCounter], 1           // test if OrigLoopCounter is Odd ?
s_cbranch_scc0 label_0028                          // Skip odd code if OrigLoopCounter is Even


	;; [unrolled: 1-line block ×3, first 2 shown]
/* iter 0 (last unrolled loop) */

s_waitcnt vmcnt(8)                                 // lgkmcnt=-1 vmcnt=8global read wait for DirectToVgpr

/*  grEndMfmaIndex:0, lwStartMfmaIndex:63, lwEndMfmaIndex:63  */
/*  numMfmaForLR:12, barrierMfmaIndex:0 */
/*  mfmaIndex:0  */
_ds_load_b64 v[vgprValuB_X0_I0+0:vgprValuB_X0_I0+0+1], v[vgprLocalReadAddrB] offset:0 // L -> Reg lro=0 swapByteOffset=0 ti=16 vIdx=0 rIdx=0 oIdx=0 buffer=0 iui=0
_ds_load_b64 v[vgprValuB_X0_I0+2:vgprValuB_X0_I0+2+1], v[vgprLocalReadAddrB] offset:1536 // L -> Reg lro=0 swapByteOffset=0 ti=16 vIdx=1 rIdx=0 oIdx=0 buffer=0 iui=0
/* localReadsVacancy: latencyLeft 1 */
s_waitcnt lgkmcnt(0)                               // lgkmcnt=0 vmcnt=-1wait for prior local read local write old=0, new=0 newLW=0 newLR=0
v_mfma_f64_16x16x4f64 a[0+0:7+0], v[vgprValuB_X0_I0+0+0+0:vgprValuB_X0_I0+0+0+0+1], v[vgprG2LA+0+0:vgprG2LA+0+0+1], a[0:7]
/*  mfmaIndex:1  */
/* localReadsVacancy: latencyLeft 5 */
_ds_load_b64 v[vgprValuB_X1_I0+0:vgprValuB_X1_I0+0+1], v[vgprLocalReadAddrB] offset:32 // L -> Reg lro=4 swapByteOffset=0 ti=16 vIdx=0 rIdx=0 oIdx=0 buffer=1 iui=0
_ds_load_b64 v[vgprValuB_X1_I0+2:vgprValuB_X1_I0+2+1], v[vgprLocalReadAddrB] offset:1568 // L -> Reg lro=4 swapByteOffset=0 ti=16 vIdx=1 rIdx=0 oIdx=0 buffer=1 iui=0
v_mfma_f64_16x16x4f64 a[8+0:15+0], v[vgprValuB_X0_I0+0+0+0:vgprValuB_X0_I0+0+0+0+1], v[vgprG2LA+2+0:vgprG2LA+2+0+1], a[8:15]
/*  mfmaIndex:2  */
/* localReadsVacancy: latencyLeft 5 */
v_mfma_f64_16x16x4f64 a[16+0:23+0], v[vgprValuB_X0_I0+0+0+0:vgprValuB_X0_I0+0+0+0+1], v[vgprG2LA+4+0:vgprG2LA+4+0+1], a[16:23]
/*  mfmaIndex:3  */
/* localReadsVacancy: latencyLeft 5 */
	;; [unrolled: 3-line block ×30, first 2 shown]
v_mfma_f64_16x16x4f64 a[128+0:135+0], v[vgprValuB_X0_I0+2+0+0:vgprValuB_X0_I0+2+0+0+1], v[vgprG2LA+0+0:vgprG2LA+0+0+1], a[128:135]
/* numPrefetchIter=0 */
/* dataAtIterA=0 numReadsIterA=1 skipReadsIterA=0 readsPerIterA=8 */
/* dataAtIterB=0 numReadsIterB=1 skipReadsIterB=0 readsPerIterB=2 */


/* iter 1 (last unrolled loop) */

s_waitcnt vmcnt(0)                                 // lgkmcnt=-1 vmcnt=0global read wait for DirectToVgpr

/*  grEndMfmaIndex:0, lwStartMfmaIndex:63, lwEndMfmaIndex:63  */
/*  numMfmaForLR:12, barrierMfmaIndex:0 */
/*  mfmaIndex:32  */
/* localReadsVacancy: latencyLeft 5 */
s_waitcnt lgkmcnt(0)                               // lgkmcnt=0 vmcnt=-1wait for prior local read local write old=0, new=0 newLW=0 newLR=0
v_mfma_f64_16x16x4f64 a[0+0:7+0], v[vgprValuB_X1_I0+0+0+0:vgprValuB_X1_I0+0+0+0+1], v[vgprG2LA+32+0:vgprG2LA+32+0+1], a[0:7]
/*  mfmaIndex:33  */
/* localReadsVacancy: latencyLeft 5 */
v_mfma_f64_16x16x4f64 a[8+0:15+0], v[vgprValuB_X1_I0+0+0+0:vgprValuB_X1_I0+0+0+0+1], v[vgprG2LA+34+0:vgprG2LA+34+0+1], a[8:15]
/*  mfmaIndex:34  */
/* localReadsVacancy: latencyLeft 5 */
	;; [unrolled: 3-line block ×31, first 2 shown]
v_mfma_f64_16x16x4f64 a[128+0:135+0], v[vgprValuB_X1_I0+2+0+0:vgprValuB_X1_I0+2+0+0+1], v[vgprG2LA+32+0:vgprG2LA+32+0+1], a[128:135]
/* numPrefetchIter=0 */
/* dataAtIterA=1 numReadsIterA=2 skipReadsIterA=0 readsPerIterA=8 */
/* dataAtIterB=1 numReadsIterB=2 skipReadsIterB=0 readsPerIterB=2 */

s_branch label_0029                                // Skip even code
label_0028: // EvenStartNoLoadLoopOrd 


	;; [unrolled: 1-line block ×3, first 2 shown]
/* iter 0 (last unrolled loop) */

s_waitcnt vmcnt(8)                                 // lgkmcnt=-1 vmcnt=8global read wait for DirectToVgpr

/*  grEndMfmaIndex:0, lwStartMfmaIndex:63, lwEndMfmaIndex:63  */
/*  numMfmaForLR:12, barrierMfmaIndex:0 */
/*  mfmaIndex:0  */
_ds_load_b64 v[vgprValuB_X0_I0+0:vgprValuB_X0_I0+0+1], v[vgprLocalReadAddrB] offset:0 // L -> Reg lro=0 swapByteOffset=0 ti=16 vIdx=0 rIdx=0 oIdx=0 buffer=0 iui=0
_ds_load_b64 v[vgprValuB_X0_I0+2:vgprValuB_X0_I0+2+1], v[vgprLocalReadAddrB] offset:1536 // L -> Reg lro=0 swapByteOffset=0 ti=16 vIdx=1 rIdx=0 oIdx=0 buffer=0 iui=0
/* localReadsVacancy: latencyLeft 1 */
s_waitcnt lgkmcnt(0)                               // lgkmcnt=0 vmcnt=-1wait for prior local read local write old=0, new=0 newLW=0 newLR=0
v_mfma_f64_16x16x4f64 a[0+0:7+0], v[vgprValuB_X0_I0+0+0+0:vgprValuB_X0_I0+0+0+0+1], v[vgprG2LA+64+0:vgprG2LA+64+0+1], a[0:7]
/*  mfmaIndex:1  */
/* localReadsVacancy: latencyLeft 5 */
_ds_load_b64 v[vgprValuB_X1_I0+0:vgprValuB_X1_I0+0+1], v[vgprLocalReadAddrB] offset:32 // L -> Reg lro=4 swapByteOffset=0 ti=16 vIdx=0 rIdx=0 oIdx=0 buffer=1 iui=0
_ds_load_b64 v[vgprValuB_X1_I0+2:vgprValuB_X1_I0+2+1], v[vgprLocalReadAddrB] offset:1568 // L -> Reg lro=4 swapByteOffset=0 ti=16 vIdx=1 rIdx=0 oIdx=0 buffer=1 iui=0
v_mfma_f64_16x16x4f64 a[8+0:15+0], v[vgprValuB_X0_I0+0+0+0:vgprValuB_X0_I0+0+0+0+1], v[vgprG2LA+66+0:vgprG2LA+66+0+1], a[8:15]
/*  mfmaIndex:2  */
/* localReadsVacancy: latencyLeft 5 */
v_mfma_f64_16x16x4f64 a[16+0:23+0], v[vgprValuB_X0_I0+0+0+0:vgprValuB_X0_I0+0+0+0+1], v[vgprG2LA+68+0:vgprG2LA+68+0+1], a[16:23]
/*  mfmaIndex:3  */
/* localReadsVacancy: latencyLeft 5 */
	;; [unrolled: 3-line block ×30, first 2 shown]
v_mfma_f64_16x16x4f64 a[128+0:135+0], v[vgprValuB_X0_I0+2+0+0:vgprValuB_X0_I0+2+0+0+1], v[vgprG2LA+64+0:vgprG2LA+64+0+1], a[128:135]
/* numPrefetchIter=0 */
/* dataAtIterA=0 numReadsIterA=1 skipReadsIterA=0 readsPerIterA=8 */
/* dataAtIterB=0 numReadsIterB=1 skipReadsIterB=0 readsPerIterB=2 */


/* iter 1 (last unrolled loop) */

s_waitcnt vmcnt(0)                                 // lgkmcnt=-1 vmcnt=0global read wait for DirectToVgpr

/*  grEndMfmaIndex:0, lwStartMfmaIndex:63, lwEndMfmaIndex:63  */
/*  numMfmaForLR:12, barrierMfmaIndex:0 */
/*  mfmaIndex:32  */
/* localReadsVacancy: latencyLeft 5 */
s_waitcnt lgkmcnt(0)                               // lgkmcnt=0 vmcnt=-1wait for prior local read local write old=0, new=0 newLW=0 newLR=0
v_mfma_f64_16x16x4f64 a[0+0:7+0], v[vgprValuB_X1_I0+0+0+0:vgprValuB_X1_I0+0+0+0+1], v[vgprG2LA+96+0:vgprG2LA+96+0+1], a[0:7]
/*  mfmaIndex:33  */
/* localReadsVacancy: latencyLeft 5 */
v_mfma_f64_16x16x4f64 a[8+0:15+0], v[vgprValuB_X1_I0+0+0+0:vgprValuB_X1_I0+0+0+0+1], v[vgprG2LA+98+0:vgprG2LA+98+0+1], a[8:15]
/*  mfmaIndex:34  */
/* localReadsVacancy: latencyLeft 5 */
	;; [unrolled: 3-line block ×31, first 2 shown]
v_mfma_f64_16x16x4f64 a[128+0:135+0], v[vgprValuB_X1_I0+2+0+0:vgprValuB_X1_I0+2+0+0+1], v[vgprG2LA+96+0:vgprG2LA+96+0+1], a[128:135]
/* numPrefetchIter=0 */
/* dataAtIterA=1 numReadsIterA=2 skipReadsIterA=0 readsPerIterA=8 */
/* dataAtIterB=1 numReadsIterB=2 skipReadsIterB=0 readsPerIterB=2 */

label_0029: // EvenEndNoLoadLoopOrd 

PrefetchGlobalLastIterEnd_5:


/******************************************/
/* Tail Loop                              */
/******************************************/


/* local write reset offsets a */


	;; [unrolled: 1-line block ×4, first 2 shown]
/* local write reset offsets b */


v_and_b32 v[vgprLocalWriteAddrB], 0xf00fff, v[vgprLocalWriteAddrB] // reset to Red


//numIterL = (((sizeL % LOCAL_DEPTHU) + LOCAL_SPLITU - 1) / LOCAL_SPLITU)
s_and_b32 s[sgprLoopCounterL], 7, s[sgprSizesSum+0] // s[sgprLoopCounterL] = s[sgprSizesSum+0] % 8
s_cmp_eq_u32 s[sgprLoopCounterL], 0x0              // numIterL == 0
s_cbranch_scc1 SkipTailLoopL_8                     // skip to end of tail loop b/c numIter==0
s_mov_b32 s[sgprOrigLoopCounter], 0                // repurpose to count each localRead increment


/* remove stagger offsets for tail loop */

s_mov_b32 s60, 3                                   // 
s_mul_hi_u32 s59, s60, s[sgprGlobalReadIncsA+0]    // 3 * GlobalReadIncs
s_mul_i32 s58, s60, s[sgprGlobalReadIncsA+0]       // 3 * GlobalReadIncs
s_mul_hi_u32 s61, s[sgprStaggerUIter], s[sgprGlobalReadIncsA+0] // StaggerUIter * GlobalReadIncs
s_mul_i32 s60, s[sgprStaggerUIter], s[sgprGlobalReadIncsA+0] // StaggerUIter * GlobalReadIncs
s_sub_u32 s58, s58, s60                            // start offset S in bytes
s_subb_u32 s59, s59, s61                           // start offset S in bytes
s_sub_u32 s58, s58, s[sgprWrapUA]                  // S - WrapU
s_subb_u32 s59, s59, s[sgprWrapUA+1]               // S - WrapU
s_add_u32 s[sgprSrdA+0], s[sgprSrdA+0], s58        // gra SRD += inc(lower)
s_addc_u32  s[sgprSrdA+1], s[sgprSrdA+1], s59      // gra SRD += inc(upper)
s_sub_u32 s[sgprShadowLimitA+0], s[sgprShadowLimitA+0], s58 // limit -= inc)
s_subb_u32 s[sgprShadowLimitA+1], s[sgprShadowLimitA+1], s59 // limit -= inc)
s_cmp_eq_u32 s[sgprShadowLimitA+1], 0              // are we within 2^32?
s_cselect_b32 s[sgprSrdA+2], s[sgprShadowLimitA+0], BufferLimitA // Move shadow to real if we are within 2^32

s_mov_b32 s60, 3                                   // 
s_mul_hi_u32 s59, s60, s[sgprGlobalReadIncsB+0]    // 3 * GlobalReadIncs
s_mul_i32 s58, s60, s[sgprGlobalReadIncsB+0]       // 3 * GlobalReadIncs
s_mul_hi_u32 s61, s[sgprStaggerUIter], s[sgprGlobalReadIncsB+0] // StaggerUIter * GlobalReadIncs
s_mul_i32 s60, s[sgprStaggerUIter], s[sgprGlobalReadIncsB+0] // StaggerUIter * GlobalReadIncs
s_sub_u32 s58, s58, s60                            // start offset S in bytes
s_subb_u32 s59, s59, s61                           // start offset S in bytes
s_sub_u32 s58, s58, s[sgprWrapUB]                  // S - WrapU
s_subb_u32 s59, s59, s[sgprWrapUB+1]               // S - WrapU
s_add_u32 s[sgprSrdB+0], s[sgprSrdB+0], s58        // gra SRD += inc(lower)
s_addc_u32  s[sgprSrdB+1], s[sgprSrdB+1], s59      // gra SRD += inc(upper)
s_sub_u32 s[sgprShadowLimitB+0], s[sgprShadowLimitB+0], s58 // limit -= inc)
s_subb_u32 s[sgprShadowLimitB+1], s[sgprShadowLimitB+1], s59 // limit -= inc)
s_cmp_eq_u32 s[sgprShadowLimitB+1], 0              // are we within 2^32?
s_cselect_b32 s[sgprSrdB+2], s[sgprShadowLimitB+0], BufferLimitB // Move shadow to real if we are within 2^32


/* Update M0 for DTLDS */


	;; [unrolled: 1-line block ×3, first 2 shown]
/* global read b */

/* g2l=0, load component 0 */
_buffer_load_b64 v[vgprG2LB+0+0:vgprG2LB+0+0+1], v[vgprGlobalReadOffsetB+0], s[sgprSrdB:sgprSrdB+3], 0, offen offset:0 // load one buffer value


/* Update M0 for DTLDS */


	;; [unrolled: 1-line block ×3, first 2 shown]
/* global read a */

/* g2l=0, load component 0 */
_buffer_load_b128 v[vgprG2LA+0+0:vgprG2LA+0+0+3], v[vgprGlobalReadOffsetA+0], s[sgprSrdA:sgprSrdA+3], 0, offen offset:0 // load packed 2X buffer value
/* g2l=4, load component 0 */
_buffer_load_b128 v[vgprG2LA+4+0:vgprG2LA+4+0+3], v[vgprGlobalReadOffsetA+1], s[sgprSrdA:sgprSrdA+3], 0, offen offset:0 // load packed 2X buffer value
/* g2l=8, load component 0 */
_buffer_load_b128 v[vgprG2LA+8+0:vgprG2LA+8+0+3], v[vgprGlobalReadOffsetA+2], s[sgprSrdA:sgprSrdA+3], 0, offen offset:0 // load packed 2X buffer value
/* g2l=12, load component 0 */
_buffer_load_b128 v[vgprG2LA+12+0:vgprG2LA+12+0+3], v[vgprGlobalReadOffsetA+3], s[sgprSrdA:sgprSrdA+3], 0, offen offset:0 // load packed 2X buffer value
/* g2l=16, load component 0 */
_buffer_load_b128 v[vgprG2LA+16+0:vgprG2LA+16+0+3], v[vgprGlobalReadOffsetA+4], s[sgprSrdA:sgprSrdA+3], 0, offen offset:0 // load packed 2X buffer value
/* g2l=20, load component 0 */
_buffer_load_b128 v[vgprG2LA+20+0:vgprG2LA+20+0+3], v[vgprGlobalReadOffsetA+5], s[sgprSrdA:sgprSrdA+3], 0, offen offset:0 // load packed 2X buffer value
/* g2l=24, load component 0 */
_buffer_load_b128 v[vgprG2LA+24+0:vgprG2LA+24+0+3], v[vgprGlobalReadOffsetA+6], s[sgprSrdA:sgprSrdA+3], 0, offen offset:0 // load packed 2X buffer value
/* g2l=28, load component 0 */
_buffer_load_b128 v[vgprG2LA+28+0:vgprG2LA+28+0+3], v[vgprGlobalReadOffsetA+7], s[sgprSrdA:sgprSrdA+3], 0, offen offset:0 // load packed 2X buffer value
/* g2l=32, load component 0 */
_buffer_load_b128 v[vgprG2LA+32+0:vgprG2LA+32+0+3], v[vgprGlobalReadOffsetA+8], s[sgprSrdA:sgprSrdA+3], 0, offen offset:0 // load packed 2X buffer value
/* g2l=36, load component 0 */
_buffer_load_b128 v[vgprG2LA+36+0:vgprG2LA+36+0+3], v[vgprGlobalReadOffsetA+9], s[sgprSrdA:sgprSrdA+3], 0, offen offset:0 // load packed 2X buffer value
/* g2l=40, load component 0 */
_buffer_load_b128 v[vgprG2LA+40+0:vgprG2LA+40+0+3], v[vgprGlobalReadOffsetA+10], s[sgprSrdA:sgprSrdA+3], 0, offen offset:0 // load packed 2X buffer value
/* g2l=44, load component 0 */
_buffer_load_b128 v[vgprG2LA+44+0:vgprG2LA+44+0+3], v[vgprGlobalReadOffsetA+11], s[sgprSrdA:sgprSrdA+3], 0, offen offset:0 // load packed 2X buffer value
/* g2l=48, load component 0 */
_buffer_load_b128 v[vgprG2LA+48+0:vgprG2LA+48+0+3], v[vgprGlobalReadOffsetA+12], s[sgprSrdA:sgprSrdA+3], 0, offen offset:0 // load packed 2X buffer value
/* g2l=52, load component 0 */
_buffer_load_b128 v[vgprG2LA+52+0:vgprG2LA+52+0+3], v[vgprGlobalReadOffsetA+13], s[sgprSrdA:sgprSrdA+3], 0, offen offset:0 // load packed 2X buffer value
/* g2l=56, load component 0 */
_buffer_load_b128 v[vgprG2LA+56+0:vgprG2LA+56+0+3], v[vgprGlobalReadOffsetA+14], s[sgprSrdA:sgprSrdA+3], 0, offen offset:0 // load packed 2X buffer value
/* g2l=60, load component 0 */
_buffer_load_b128 v[vgprG2LA+60+0:vgprG2LA+60+0+3], v[vgprGlobalReadOffsetA+15], s[sgprSrdA:sgprSrdA+3], 0, offen offset:0 // load packed 2X buffer value

s_waitcnt vmcnt(0)                                 // lgkmcnt=-1 vmcnt=02wait for global read

s_waitcnt lgkmcnt(0) & vmcnt(0)                    // force waitcnt0
s_barrier //


/* Done global A/B reads */


	;; [unrolled: 1-line block ×4, first 2 shown]
/* local write a */


	;; [unrolled: 1-line block ×3, first 2 shown]
/* local write b */

_ds_store_b64 v[vgprLocalWriteAddrB], v[vgprG2LB+0:vgprG2LB+0+1] offset:0 // lwoB_0_0_0_0 = (0*LSCB)*(MT1J+PAD) + (0*LSPB) = 0

s_waitcnt lgkmcnt(0)                               // lgkmcnt=0 vmcnt=-15wait for local write

s_waitcnt lgkmcnt(0) & vmcnt(0)                    // force waitcnt0
s_barrier //


/* local read reset offsets a */


	;; [unrolled: 1-line block ×3, first 2 shown]
/* local read reset offsets b */


/* localReadResetOffsets */
/* handled internally */
v_and_b32 v[vgprLocalReadAddrB], 0xfff, v[vgprLocalReadAddrB] // reset Red,Blk -> Red


/* local read init pointers a */


	;; [unrolled: 1-line block ×3, first 2 shown]
/* local read init pointers b */


/* localReadInitPointers */


/* tail loop: macs */

TailLoopBeginL_6:


/* tail loop unroll iter 0 */


/* local read a */


	;; [unrolled: 1-line block ×3, first 2 shown]
/* local read b */

_ds_load_b64 v[vgprValuB_X0_I0+0:vgprValuB_X0_I0+0+1], v[vgprLocalReadAddrB] offset:0 // L -> Reg lro=0 swapByteOffset=0 ti=16 vIdx=0 rIdx=0 oIdx=0 buffer=0 iui=0
_ds_load_b64 v[vgprValuB_X0_I0+2:vgprValuB_X0_I0+2+1], v[vgprLocalReadAddrB] offset:1536 // L -> Reg lro=0 swapByteOffset=0 ti=16 vIdx=1 rIdx=0 oIdx=0 buffer=0 iui=0


/* local read inc a */


	;; [unrolled: 1-line block ×3, first 2 shown]
/* local read inc b */

s_mov_b32 s58, 0x20                                // inc
_v_add_co_u32 v[vgprLocalReadAddrB], vcc, s58, v[vgprLocalReadAddrB] // lrB += 32 (LSU*bpe)

s_waitcnt lgkmcnt(0)                               // lgkmcnt=0 vmcnt=-14wait for local read


	;; [unrolled: 1-line block ×3, first 2 shown]
/* tail loop mfma iter 0: numReadsIterCoalescedA=1, numReadsIterCoalescedB=1 */
v_and_b32 v158, 63, v[vgprSerial]                  // v158 = v[vgprSerial] % 64
v_lshrrev_b32 v158, 4, v158                        // v158 = v158 / 16
                                                   // v158 = v158 * 1 (multiplier is 1, do nothing)
v_cmp_ge_i32 s[58:59], v158, s[sgprLoopCounterL]   // check K index >= Size L
v_cndmask_b32 v[vgprValuB_X0_I0+0+0+0+0], v[vgprValuB_X0_I0+0+0+0+0], 0x0, s[58:59] // set 0 if K_idx >= sizeL
v_cndmask_b32 v[vgprValuB_X0_I0+2+0+0+0], v[vgprValuB_X0_I0+2+0+0+0], 0x0, s[58:59] // set 0 if K_idx >= sizeL
	;; [unrolled: 1-line block ×4, first 2 shown]
s_nop 1
v_mfma_f64_16x16x4f64 a[0+0:7+0], v[vgprValuB_X0_I0+0+0+0:vgprValuB_X0_I0+0+0+0+1], v[vgprG2LA+0+0:vgprG2LA+0+0+1], a[0:7]
v_mfma_f64_16x16x4f64 a[8+0:15+0], v[vgprValuB_X0_I0+0+0+0:vgprValuB_X0_I0+0+0+0+1], v[vgprG2LA+2+0:vgprG2LA+2+0+1], a[8:15]
	;; [unrolled: 1-line block ×32, first 2 shown]


/* closeLoop loopL finalLoop=0 tailLoop=1 */
s_sub_i32 s[sgprLoopCounterL], s[sgprLoopCounterL], 0x4 // dec counterL (tailLoop)
s_add_u32 s[sgprOrigLoopCounter], s[sgprOrigLoopCounter], 0x4 // inc counterL
s_cmp_le_i32 s[sgprLoopCounterL], 0x0              // counterL<=0
s_cbranch_scc1 TailLoopEndL_7                      // exit LoopL


/* tail loop unroll iter 1 */


/* local read a */


	;; [unrolled: 1-line block ×3, first 2 shown]
/* local read b */

_ds_load_b64 v[vgprValuB_X1_I0+0:vgprValuB_X1_I0+0+1], v[vgprLocalReadAddrB] offset:0 // L -> Reg lro=0 swapByteOffset=0 ti=16 vIdx=0 rIdx=0 oIdx=0 buffer=1 iui=0
_ds_load_b64 v[vgprValuB_X1_I0+2:vgprValuB_X1_I0+2+1], v[vgprLocalReadAddrB] offset:1536 // L -> Reg lro=0 swapByteOffset=0 ti=16 vIdx=1 rIdx=0 oIdx=0 buffer=1 iui=0


/* local read inc a */


	;; [unrolled: 1-line block ×3, first 2 shown]
/* local read inc b */

s_mov_b32 s58, 0x20                                // inc
_v_add_co_u32 v[vgprLocalReadAddrB], vcc, s58, v[vgprLocalReadAddrB] // lrB += 32 (LSU*bpe)

s_waitcnt lgkmcnt(0)                               // lgkmcnt=0 vmcnt=-14wait for local read


	;; [unrolled: 1-line block ×3, first 2 shown]
/* tail loop mfma iter 1: numReadsIterCoalescedA=1, numReadsIterCoalescedB=1 */
v_and_b32 v158, 63, v[vgprSerial]                  // v158 = v[vgprSerial] % 64
v_lshrrev_b32 v158, 4, v158                        // v158 = v158 / 16
                                                   // v158 = v158 * 1 (multiplier is 1, do nothing)
v_cmp_ge_i32 s[58:59], v158, s[sgprLoopCounterL]   // check K index >= Size L
v_cndmask_b32 v[vgprValuB_X1_I0+0+0+0+0], v[vgprValuB_X1_I0+0+0+0+0], 0x0, s[58:59] // set 0 if K_idx >= sizeL
v_cndmask_b32 v[vgprValuB_X1_I0+2+0+0+0], v[vgprValuB_X1_I0+2+0+0+0], 0x0, s[58:59] // set 0 if K_idx >= sizeL
	;; [unrolled: 1-line block ×4, first 2 shown]
s_nop 1
v_mfma_f64_16x16x4f64 a[0+0:7+0], v[vgprValuB_X1_I0+0+0+0:vgprValuB_X1_I0+0+0+0+1], v[vgprG2LA+32+0:vgprG2LA+32+0+1], a[0:7]
v_mfma_f64_16x16x4f64 a[8+0:15+0], v[vgprValuB_X1_I0+0+0+0:vgprValuB_X1_I0+0+0+0+1], v[vgprG2LA+34+0:vgprG2LA+34+0+1], a[8:15]
v_mfma_f64_16x16x4f64 a[16+0:23+0], v[vgprValuB_X1_I0+0+0+0:vgprValuB_X1_I0+0+0+0+1], v[vgprG2LA+36+0:vgprG2LA+36+0+1], a[16:23]
v_mfma_f64_16x16x4f64 a[24+0:31+0], v[vgprValuB_X1_I0+0+0+0:vgprValuB_X1_I0+0+0+0+1], v[vgprG2LA+38+0:vgprG2LA+38+0+1], a[24:31]
v_mfma_f64_16x16x4f64 a[32+0:39+0], v[vgprValuB_X1_I0+0+0+0:vgprValuB_X1_I0+0+0+0+1], v[vgprG2LA+40+0:vgprG2LA+40+0+1], a[32:39]
v_mfma_f64_16x16x4f64 a[40+0:47+0], v[vgprValuB_X1_I0+0+0+0:vgprValuB_X1_I0+0+0+0+1], v[vgprG2LA+42+0:vgprG2LA+42+0+1], a[40:47]
v_mfma_f64_16x16x4f64 a[48+0:55+0], v[vgprValuB_X1_I0+0+0+0:vgprValuB_X1_I0+0+0+0+1], v[vgprG2LA+44+0:vgprG2LA+44+0+1], a[48:55]
v_mfma_f64_16x16x4f64 a[56+0:63+0], v[vgprValuB_X1_I0+0+0+0:vgprValuB_X1_I0+0+0+0+1], v[vgprG2LA+46+0:vgprG2LA+46+0+1], a[56:63]
v_mfma_f64_16x16x4f64 a[64+0:71+0], v[vgprValuB_X1_I0+0+0+0:vgprValuB_X1_I0+0+0+0+1], v[vgprG2LA+48+0:vgprG2LA+48+0+1], a[64:71]
v_mfma_f64_16x16x4f64 a[72+0:79+0], v[vgprValuB_X1_I0+0+0+0:vgprValuB_X1_I0+0+0+0+1], v[vgprG2LA+50+0:vgprG2LA+50+0+1], a[72:79]
v_mfma_f64_16x16x4f64 a[80+0:87+0], v[vgprValuB_X1_I0+0+0+0:vgprValuB_X1_I0+0+0+0+1], v[vgprG2LA+52+0:vgprG2LA+52+0+1], a[80:87]
v_mfma_f64_16x16x4f64 a[88+0:95+0], v[vgprValuB_X1_I0+0+0+0:vgprValuB_X1_I0+0+0+0+1], v[vgprG2LA+54+0:vgprG2LA+54+0+1], a[88:95]
v_mfma_f64_16x16x4f64 a[96+0:103+0], v[vgprValuB_X1_I0+0+0+0:vgprValuB_X1_I0+0+0+0+1], v[vgprG2LA+56+0:vgprG2LA+56+0+1], a[96:103]
v_mfma_f64_16x16x4f64 a[104+0:111+0], v[vgprValuB_X1_I0+0+0+0:vgprValuB_X1_I0+0+0+0+1], v[vgprG2LA+58+0:vgprG2LA+58+0+1], a[104:111]
v_mfma_f64_16x16x4f64 a[112+0:119+0], v[vgprValuB_X1_I0+0+0+0:vgprValuB_X1_I0+0+0+0+1], v[vgprG2LA+60+0:vgprG2LA+60+0+1], a[112:119]
v_mfma_f64_16x16x4f64 a[120+0:127+0], v[vgprValuB_X1_I0+0+0+0:vgprValuB_X1_I0+0+0+0+1], v[vgprG2LA+62+0:vgprG2LA+62+0+1], a[120:127]
v_mfma_f64_16x16x4f64 a[248+0:255+0], v[vgprValuB_X1_I0+2+0+0:vgprValuB_X1_I0+2+0+0+1], v[vgprG2LA+62+0:vgprG2LA+62+0+1], a[248:255]
v_mfma_f64_16x16x4f64 a[240+0:247+0], v[vgprValuB_X1_I0+2+0+0:vgprValuB_X1_I0+2+0+0+1], v[vgprG2LA+60+0:vgprG2LA+60+0+1], a[240:247]
v_mfma_f64_16x16x4f64 a[232+0:239+0], v[vgprValuB_X1_I0+2+0+0:vgprValuB_X1_I0+2+0+0+1], v[vgprG2LA+58+0:vgprG2LA+58+0+1], a[232:239]
v_mfma_f64_16x16x4f64 a[224+0:231+0], v[vgprValuB_X1_I0+2+0+0:vgprValuB_X1_I0+2+0+0+1], v[vgprG2LA+56+0:vgprG2LA+56+0+1], a[224:231]
v_mfma_f64_16x16x4f64 a[216+0:223+0], v[vgprValuB_X1_I0+2+0+0:vgprValuB_X1_I0+2+0+0+1], v[vgprG2LA+54+0:vgprG2LA+54+0+1], a[216:223]
v_mfma_f64_16x16x4f64 a[208+0:215+0], v[vgprValuB_X1_I0+2+0+0:vgprValuB_X1_I0+2+0+0+1], v[vgprG2LA+52+0:vgprG2LA+52+0+1], a[208:215]
v_mfma_f64_16x16x4f64 a[200+0:207+0], v[vgprValuB_X1_I0+2+0+0:vgprValuB_X1_I0+2+0+0+1], v[vgprG2LA+50+0:vgprG2LA+50+0+1], a[200:207]
v_mfma_f64_16x16x4f64 a[192+0:199+0], v[vgprValuB_X1_I0+2+0+0:vgprValuB_X1_I0+2+0+0+1], v[vgprG2LA+48+0:vgprG2LA+48+0+1], a[192:199]
v_mfma_f64_16x16x4f64 a[184+0:191+0], v[vgprValuB_X1_I0+2+0+0:vgprValuB_X1_I0+2+0+0+1], v[vgprG2LA+46+0:vgprG2LA+46+0+1], a[184:191]
v_mfma_f64_16x16x4f64 a[176+0:183+0], v[vgprValuB_X1_I0+2+0+0:vgprValuB_X1_I0+2+0+0+1], v[vgprG2LA+44+0:vgprG2LA+44+0+1], a[176:183]
v_mfma_f64_16x16x4f64 a[168+0:175+0], v[vgprValuB_X1_I0+2+0+0:vgprValuB_X1_I0+2+0+0+1], v[vgprG2LA+42+0:vgprG2LA+42+0+1], a[168:175]
v_mfma_f64_16x16x4f64 a[160+0:167+0], v[vgprValuB_X1_I0+2+0+0:vgprValuB_X1_I0+2+0+0+1], v[vgprG2LA+40+0:vgprG2LA+40+0+1], a[160:167]
v_mfma_f64_16x16x4f64 a[152+0:159+0], v[vgprValuB_X1_I0+2+0+0:vgprValuB_X1_I0+2+0+0+1], v[vgprG2LA+38+0:vgprG2LA+38+0+1], a[152:159]
v_mfma_f64_16x16x4f64 a[144+0:151+0], v[vgprValuB_X1_I0+2+0+0:vgprValuB_X1_I0+2+0+0+1], v[vgprG2LA+36+0:vgprG2LA+36+0+1], a[144:151]
v_mfma_f64_16x16x4f64 a[136+0:143+0], v[vgprValuB_X1_I0+2+0+0:vgprValuB_X1_I0+2+0+0+1], v[vgprG2LA+34+0:vgprG2LA+34+0+1], a[136:143]
v_mfma_f64_16x16x4f64 a[128+0:135+0], v[vgprValuB_X1_I0+2+0+0:vgprValuB_X1_I0+2+0+0+1], v[vgprG2LA+32+0:vgprG2LA+32+0+1], a[128:135]


/* closeLoop loopL finalLoop=1 tailLoop=1 */
s_sub_i32 s[sgprLoopCounterL], s[sgprLoopCounterL], 0x4 // dec counterL (tailLoop)
s_add_u32 s[sgprOrigLoopCounter], s[sgprOrigLoopCounter], 0x4 // inc counterL
s_cmp_le_i32 s[sgprLoopCounterL], 0x0              // counterL<=0
s_cbranch_scc0 TailLoopBeginL_6                    // restart LoopL
TailLoopEndL_7:

SkipTailLoopL_8:

Summation_End_32:
/* endSummation: add vgpr [0...156) to pool */
.set NumFullBlocks, UNDEF
.set WgmRemainder1, UNDEF
.set MagicNumberWgmRemainder1, UNDEF

/* Mapping of Acc register -> C Vgpr register */


	;; [unrolled: 1-line block ×3, first 2 shown]
/* not-LocalSplitU: global write indices */

/* computeStoreVgprs */
v_lshrrev_b32 v4, 6, v[vgprSerial]                 // v4 = v[vgprSerial] / 64
v_and_b32 v1, 63, v[vgprSerial]                    // v1 = v[vgprSerial] % 64
v_lshrrev_b32 v1, 4, v1                            // v1 = v1 / 16
                                                   // thread0 * continuous_output (multiplier is 1, do nothing)
v_lshrrev_b32 v5, 2, v4                            // v5 = v4 / 4
v_mul_lo_u32 v5, 0x10, v5                          // wave coordination offset 1
_v_add_lshl_u32 v1, v5, v1, 0                      // coordination 1 = vwb *(wave_id1 + tid1)
v_mul_lo_u32 v2, v1, s[sgprStrideC1J]              //  offset 1
v_mul_lo_u32 v3, v1, s[sgprStrideD1J]              //  offset 1
v_and_b32 v5, 3, v4                                // v5 = v4 % 4
v_mul_lo_u32 v5, 0x10, v5                          // wave coordination offset 0
v_and_b32 v0, 15, v[vgprSerial]                    // v0 = v[vgprSerial] % 16
_v_add_lshl_u32 v0, v5, v0, 1                      // coordination 0 = vwa *(wave_id0 + tid0)
s_mul_i32 s55, 1024, s[sgprWorkGroup0]             // wgp0 * MT0
_v_add_u32 v0, s55, v0                             // coord 0 = (tid0/MI_m)*4 + waveG0*MIB_m + MT0*SG0
s_mul_i32 s55, 32, s[sgprWorkGroup1]               // wgp1 * MT1
_v_add_u32 v1, s55, v1                             // coord 1 = (tid0%MI_m) + waveG1*MIB_n + MT1*SG1


/* not-LocalSplitU: global write */

s_mov_b32 s55, s[sgprBeta+0]                       // tmp = Beta[0]
s_or_b32 s55, s[sgprBeta+1], s55                   // tmp |= Beta[1] 
s_cmpk_eq_u32 s55, 0x0                             // Beta == 0
s_cbranch_scc0 GW_Beta_47                          // Branch if Beta is not zero

s_and_b32 s56, 1023, s[sgprSizeI]                  // s56 = s[sgprSizeI] % 1024
s_add_u32 s57, -0x1, s[sgprNumWorkGroups0]         // 
s_cmp_ge_u32 s[sgprWorkGroup0], s57                // wg0 >= nwg0-1 ?
s_cselect_b32 s56, s56, 0                          // set rMT0
s_cmpk_gt_u32 s56, 0x0                             // rMT0 > 0
s_cbranch_scc1 GW_B0_E1_38                         // jump if edges required
s_and_b32 s56, 31, s[sgprSizeJ]                    // s56 = s[sgprSizeJ] % 32
s_add_u32 s57, -0x1, s[sgprNumWorkGroups1]         // 
s_cmp_ge_u32 s[sgprWorkGroup1], s57                // wg1 >= nwg1-1
s_cselect_b32 s56, s56, 0                          // set rMT1
s_cmpk_gt_u32 s56, 0x0                             // rMT1 > 0
s_cbranch_scc1 GW_B0_E1_38                         // jump if edges required
GW_B0_E0_35:

/* edge=0, allocate 2 sgpr. perBatchTmpS=2 perBatchMaskS=0 perElementMaskS=0 elementsPerBatch=61 */
/* optSingleColVgpr=1 optSharedColVgpr=0 optSGPRUsage=BufferLoad_Mask optSrdIncForRow=1 */

/******************************************/
/* Global Write Alpha Batch #0 (d1,d0,vc1,vc0) = */
/*    (0,0,0,0:vw2); (0,1,0,0:vw2); (0,2,0,0:vw2); (0,3,0,0:vw2); (0,4,0,0:vw2); (0,5,0,0:vw2); (0,6,0,0:vw2); (0,7,0,0:vw2); (1,0,0,0:vw2); (1,1,0,0:vw2); (1,2,0,0:vw2); (1,3,0,0:vw2); (1,4,0,0:vw2); (1,5,0,0:vw2); (1,6,0,0:vw2); (1,7,0,0:vw2); (2,0,0,0:vw2); (2,1,0,0:vw2); (2,2,0,0:vw2); (2,3,0,0:vw2); (2,4,0,0:vw2); (2,5,0,0:vw2); (2,6,0,0:vw2); (2,7,0,0:vw2); (3,0,0,0:vw2); (3,1,0,0:vw2); (3,2,0,0:vw2); (3,3,0,0:vw2); (3,4,0,0:vw2); (3,5,0,0:vw2); (3,6,0,0:vw2); (3,7,0,0:vw2); (4,0,0,0:vw2); (4,1,0,0:vw2); (4,2,0,0:vw2); (4,3,0,0:vw2); (4,4,0,0:vw2); (4,5,0,0:vw2); (4,6,0,0:vw2); (4,7,0,0:vw2); (5,0,0,0:vw2); (5,1,0,0:vw2); (5,2,0,0:vw2); (5,3,0,0:vw2); (5,4,0,0:vw2); (5,5,0,0:vw2); (5,6,0,0:vw2); (5,7,0,0:vw2); (6,0,0,0:vw2); (6,1,0,0:vw2); (6,2,0,0:vw2); (6,3,0,0:vw2); (6,4,0,0:vw2); (6,5,0,0:vw2); (6,6,0,0:vw2); (6,7,0,0:vw2); (7,0,0,0:vw2); (7,1,0,0:vw2); (7,2,0,0:vw2); (7,3,0,0:vw2); (7,4,0,0:vw2) */
/******************************************/

/* calc coords, apply mask, and issue loads (if necessary) */
/* (d1,vc1,d0,vc0)=(0,0,0,0) */
/* (d1,vc1,d0,vc0)=(0,0,1,0) */
	;; [unrolled: 1-line block ×61, first 2 shown]
_v_add_lshl_u32 v6, v3, v0, 0x3                    // optSingleColVgpr scaleToBpe: sharedAddrVgpr <- cinRowPtr + coord0, scaled by BPE. BSHERE:coord0=0, coord0Vgpr=0
v_accvgpr_read_b32 v[vgprValuC+8], acc0 // copy acc to vreg[0]
v_accvgpr_read_b32 v[vgprValuC+9], acc1 // copy acc to vreg[1]
v_accvgpr_read_b32 v[vgprValuC+10], acc8 // copy acc to vreg[2]
v_accvgpr_read_b32 v[vgprValuC+11], acc9 // copy acc to vreg[3]
v_accvgpr_read_b32 v[vgprValuC+12], acc16 // copy acc to vreg[4]
v_accvgpr_read_b32 v[vgprValuC+13], acc17 // copy acc to vreg[5]
v_accvgpr_read_b32 v[vgprValuC+14], acc24 // copy acc to vreg[6]
v_accvgpr_read_b32 v[vgprValuC+15], acc25 // copy acc to vreg[7]
v_accvgpr_read_b32 v[vgprValuC+16], acc32 // copy acc to vreg[8]
v_accvgpr_read_b32 v[vgprValuC+17], acc33 // copy acc to vreg[9]
v_accvgpr_read_b32 v[vgprValuC+18], acc40 // copy acc to vreg[10]
v_accvgpr_read_b32 v[vgprValuC+19], acc41 // copy acc to vreg[11]
v_accvgpr_read_b32 v[vgprValuC+20], acc48 // copy acc to vreg[12]
v_accvgpr_read_b32 v[vgprValuC+21], acc49 // copy acc to vreg[13]
v_accvgpr_read_b32 v[vgprValuC+22], acc56 // copy acc to vreg[14]
v_accvgpr_read_b32 v[vgprValuC+23], acc57 // copy acc to vreg[15]
v_accvgpr_read_b32 v[vgprValuC+24], acc64 // copy acc to vreg[16]
v_accvgpr_read_b32 v[vgprValuC+25], acc65 // copy acc to vreg[17]
v_accvgpr_read_b32 v[vgprValuC+26], acc72 // copy acc to vreg[18]
v_accvgpr_read_b32 v[vgprValuC+27], acc73 // copy acc to vreg[19]
v_accvgpr_read_b32 v[vgprValuC+28], acc80 // copy acc to vreg[20]
v_accvgpr_read_b32 v[vgprValuC+29], acc81 // copy acc to vreg[21]
v_accvgpr_read_b32 v[vgprValuC+30], acc88 // copy acc to vreg[22]
v_accvgpr_read_b32 v[vgprValuC+31], acc89 // copy acc to vreg[23]
v_accvgpr_read_b32 v[vgprValuC+32], acc96 // copy acc to vreg[24]
v_accvgpr_read_b32 v[vgprValuC+33], acc97 // copy acc to vreg[25]
v_accvgpr_read_b32 v[vgprValuC+34], acc104 // copy acc to vreg[26]
v_accvgpr_read_b32 v[vgprValuC+35], acc105 // copy acc to vreg[27]
v_accvgpr_read_b32 v[vgprValuC+36], acc112 // copy acc to vreg[28]
v_accvgpr_read_b32 v[vgprValuC+37], acc113 // copy acc to vreg[29]
v_accvgpr_read_b32 v[vgprValuC+38], acc120 // copy acc to vreg[30]
v_accvgpr_read_b32 v[vgprValuC+39], acc121 // copy acc to vreg[31]
v_accvgpr_read_b32 v[vgprValuC+40], acc2 // copy acc to vreg[32]
v_accvgpr_read_b32 v[vgprValuC+41], acc3 // copy acc to vreg[33]
v_accvgpr_read_b32 v[vgprValuC+42], acc10 // copy acc to vreg[34]
v_accvgpr_read_b32 v[vgprValuC+43], acc11 // copy acc to vreg[35]
v_accvgpr_read_b32 v[vgprValuC+44], acc18 // copy acc to vreg[36]
v_accvgpr_read_b32 v[vgprValuC+45], acc19 // copy acc to vreg[37]
v_accvgpr_read_b32 v[vgprValuC+46], acc26 // copy acc to vreg[38]
v_accvgpr_read_b32 v[vgprValuC+47], acc27 // copy acc to vreg[39]
v_accvgpr_read_b32 v[vgprValuC+48], acc34 // copy acc to vreg[40]
v_accvgpr_read_b32 v[vgprValuC+49], acc35 // copy acc to vreg[41]
v_accvgpr_read_b32 v[vgprValuC+50], acc42 // copy acc to vreg[42]
v_accvgpr_read_b32 v[vgprValuC+51], acc43 // copy acc to vreg[43]
v_accvgpr_read_b32 v[vgprValuC+52], acc50 // copy acc to vreg[44]
v_accvgpr_read_b32 v[vgprValuC+53], acc51 // copy acc to vreg[45]
v_accvgpr_read_b32 v[vgprValuC+54], acc58 // copy acc to vreg[46]
v_accvgpr_read_b32 v[vgprValuC+55], acc59 // copy acc to vreg[47]
v_accvgpr_read_b32 v[vgprValuC+56], acc66 // copy acc to vreg[48]
v_accvgpr_read_b32 v[vgprValuC+57], acc67 // copy acc to vreg[49]
v_accvgpr_read_b32 v[vgprValuC+58], acc74 // copy acc to vreg[50]
v_accvgpr_read_b32 v[vgprValuC+59], acc75 // copy acc to vreg[51]
v_accvgpr_read_b32 v[vgprValuC+60], acc82 // copy acc to vreg[52]
v_accvgpr_read_b32 v[vgprValuC+61], acc83 // copy acc to vreg[53]
v_accvgpr_read_b32 v[vgprValuC+62], acc90 // copy acc to vreg[54]
v_accvgpr_read_b32 v[vgprValuC+63], acc91 // copy acc to vreg[55]
v_accvgpr_read_b32 v[vgprValuC+64], acc98 // copy acc to vreg[56]
v_accvgpr_read_b32 v[vgprValuC+65], acc99 // copy acc to vreg[57]
v_accvgpr_read_b32 v[vgprValuC+66], acc106 // copy acc to vreg[58]
v_accvgpr_read_b32 v[vgprValuC+67], acc107 // copy acc to vreg[59]
v_accvgpr_read_b32 v[vgprValuC+68], acc114 // copy acc to vreg[60]
v_accvgpr_read_b32 v[vgprValuC+69], acc115 // copy acc to vreg[61]
v_accvgpr_read_b32 v[vgprValuC+70], acc122 // copy acc to vreg[62]
v_accvgpr_read_b32 v[vgprValuC+71], acc123 // copy acc to vreg[63]
v_accvgpr_read_b32 v[vgprValuC+72], acc4 // copy acc to vreg[64]
v_accvgpr_read_b32 v[vgprValuC+73], acc5 // copy acc to vreg[65]
v_accvgpr_read_b32 v[vgprValuC+74], acc12 // copy acc to vreg[66]
v_accvgpr_read_b32 v[vgprValuC+75], acc13 // copy acc to vreg[67]
v_accvgpr_read_b32 v[vgprValuC+76], acc20 // copy acc to vreg[68]
v_accvgpr_read_b32 v[vgprValuC+77], acc21 // copy acc to vreg[69]
v_accvgpr_read_b32 v[vgprValuC+78], acc28 // copy acc to vreg[70]
v_accvgpr_read_b32 v[vgprValuC+79], acc29 // copy acc to vreg[71]
v_accvgpr_read_b32 v[vgprValuC+80], acc36 // copy acc to vreg[72]
v_accvgpr_read_b32 v[vgprValuC+81], acc37 // copy acc to vreg[73]
v_accvgpr_read_b32 v[vgprValuC+82], acc44 // copy acc to vreg[74]
v_accvgpr_read_b32 v[vgprValuC+83], acc45 // copy acc to vreg[75]
v_accvgpr_read_b32 v[vgprValuC+84], acc52 // copy acc to vreg[76]
v_accvgpr_read_b32 v[vgprValuC+85], acc53 // copy acc to vreg[77]
v_accvgpr_read_b32 v[vgprValuC+86], acc60 // copy acc to vreg[78]
v_accvgpr_read_b32 v[vgprValuC+87], acc61 // copy acc to vreg[79]
v_accvgpr_read_b32 v[vgprValuC+88], acc68 // copy acc to vreg[80]
v_accvgpr_read_b32 v[vgprValuC+89], acc69 // copy acc to vreg[81]
v_accvgpr_read_b32 v[vgprValuC+90], acc76 // copy acc to vreg[82]
v_accvgpr_read_b32 v[vgprValuC+91], acc77 // copy acc to vreg[83]
v_accvgpr_read_b32 v[vgprValuC+92], acc84 // copy acc to vreg[84]
v_accvgpr_read_b32 v[vgprValuC+93], acc85 // copy acc to vreg[85]
v_accvgpr_read_b32 v[vgprValuC+94], acc92 // copy acc to vreg[86]
v_accvgpr_read_b32 v[vgprValuC+95], acc93 // copy acc to vreg[87]
v_accvgpr_read_b32 v[vgprValuC+96], acc100 // copy acc to vreg[88]
v_accvgpr_read_b32 v[vgprValuC+97], acc101 // copy acc to vreg[89]
v_accvgpr_read_b32 v[vgprValuC+98], acc108 // copy acc to vreg[90]
v_accvgpr_read_b32 v[vgprValuC+99], acc109 // copy acc to vreg[91]
v_accvgpr_read_b32 v[vgprValuC+100], acc116 // copy acc to vreg[92]
v_accvgpr_read_b32 v[vgprValuC+101], acc117 // copy acc to vreg[93]
v_accvgpr_read_b32 v[vgprValuC+102], acc124 // copy acc to vreg[94]
v_accvgpr_read_b32 v[vgprValuC+103], acc125 // copy acc to vreg[95]
v_accvgpr_read_b32 v[vgprValuC+104], acc6 // copy acc to vreg[96]
v_accvgpr_read_b32 v[vgprValuC+105], acc7 // copy acc to vreg[97]
v_accvgpr_read_b32 v[vgprValuC+106], acc14 // copy acc to vreg[98]
v_accvgpr_read_b32 v[vgprValuC+107], acc15 // copy acc to vreg[99]
v_accvgpr_read_b32 v[vgprValuC+108], acc22 // copy acc to vreg[100]
v_accvgpr_read_b32 v[vgprValuC+109], acc23 // copy acc to vreg[101]
v_accvgpr_read_b32 v[vgprValuC+110], acc30 // copy acc to vreg[102]
v_accvgpr_read_b32 v[vgprValuC+111], acc31 // copy acc to vreg[103]
v_accvgpr_read_b32 v[vgprValuC+112], acc38 // copy acc to vreg[104]
v_accvgpr_read_b32 v[vgprValuC+113], acc39 // copy acc to vreg[105]
v_accvgpr_read_b32 v[vgprValuC+114], acc46 // copy acc to vreg[106]
v_accvgpr_read_b32 v[vgprValuC+115], acc47 // copy acc to vreg[107]
v_accvgpr_read_b32 v[vgprValuC+116], acc54 // copy acc to vreg[108]
v_accvgpr_read_b32 v[vgprValuC+117], acc55 // copy acc to vreg[109]
v_accvgpr_read_b32 v[vgprValuC+118], acc62 // copy acc to vreg[110]
v_accvgpr_read_b32 v[vgprValuC+119], acc63 // copy acc to vreg[111]
v_accvgpr_read_b32 v[vgprValuC+120], acc70 // copy acc to vreg[112]
v_accvgpr_read_b32 v[vgprValuC+121], acc71 // copy acc to vreg[113]
v_accvgpr_read_b32 v[vgprValuC+122], acc78 // copy acc to vreg[114]
v_accvgpr_read_b32 v[vgprValuC+123], acc79 // copy acc to vreg[115]
v_accvgpr_read_b32 v[vgprValuC+124], acc86 // copy acc to vreg[116]
v_accvgpr_read_b32 v[vgprValuC+125], acc87 // copy acc to vreg[117]
v_accvgpr_read_b32 v[vgprValuC+126], acc94 // copy acc to vreg[118]
v_accvgpr_read_b32 v[vgprValuC+127], acc95 // copy acc to vreg[119]
v_accvgpr_read_b32 v[vgprValuC+128], acc102 // copy acc to vreg[120]
v_accvgpr_read_b32 v[vgprValuC+129], acc103 // copy acc to vreg[121]
v_accvgpr_read_b32 v[vgprValuC+130], acc110 // copy acc to vreg[122]
v_accvgpr_read_b32 v[vgprValuC+131], acc111 // copy acc to vreg[123]
v_accvgpr_read_b32 v[vgprValuC+132], acc118 // copy acc to vreg[124]
v_accvgpr_read_b32 v[vgprValuC+133], acc119 // copy acc to vreg[125]
v_accvgpr_read_b32 v[vgprValuC+134], acc126 // copy acc to vreg[126]
v_accvgpr_read_b32 v[vgprValuC+135], acc127 // copy acc to vreg[127]
v_accvgpr_read_b32 v[vgprValuC+136], acc128 // copy acc to vreg[128]
v_accvgpr_read_b32 v[vgprValuC+137], acc129 // copy acc to vreg[129]
v_accvgpr_read_b32 v[vgprValuC+138], acc136 // copy acc to vreg[130]
v_accvgpr_read_b32 v[vgprValuC+139], acc137 // copy acc to vreg[131]
v_accvgpr_read_b32 v[vgprValuC+140], acc144 // copy acc to vreg[132]
v_accvgpr_read_b32 v[vgprValuC+141], acc145 // copy acc to vreg[133]
v_accvgpr_read_b32 v[vgprValuC+142], acc152 // copy acc to vreg[134]
v_accvgpr_read_b32 v[vgprValuC+143], acc153 // copy acc to vreg[135]
v_accvgpr_read_b32 v[vgprValuC+144], acc160 // copy acc to vreg[136]
v_accvgpr_read_b32 v[vgprValuC+145], acc161 // copy acc to vreg[137]
v_accvgpr_read_b32 v[vgprValuC+146], acc168 // copy acc to vreg[138]
v_accvgpr_read_b32 v[vgprValuC+147], acc169 // copy acc to vreg[139]
v_accvgpr_read_b32 v[vgprValuC+148], acc176 // copy acc to vreg[140]
v_accvgpr_read_b32 v[vgprValuC+149], acc177 // copy acc to vreg[141]
v_accvgpr_read_b32 v[vgprValuC+150], acc184 // copy acc to vreg[142]
v_accvgpr_read_b32 v[vgprValuC+151], acc185 // copy acc to vreg[143]
v_accvgpr_read_b32 v[vgprValuC+152], acc192 // copy acc to vreg[144]
v_accvgpr_read_b32 v[vgprValuC+153], acc193 // copy acc to vreg[145]
v_accvgpr_read_b32 v[vgprValuC+154], acc200 // copy acc to vreg[146]
v_accvgpr_read_b32 v[vgprValuC+155], acc201 // copy acc to vreg[147]
v_accvgpr_read_b32 v[vgprValuC+160], acc208 // copy acc to vreg[148]
v_accvgpr_read_b32 v[vgprValuC+161], acc209 // copy acc to vreg[149]
v_accvgpr_read_b32 v[vgprValuC+162], acc216 // copy acc to vreg[150]
v_accvgpr_read_b32 v[vgprValuC+163], acc217 // copy acc to vreg[151]
v_accvgpr_read_b32 v[vgprValuC+164], acc224 // copy acc to vreg[152]
v_accvgpr_read_b32 v[vgprValuC+165], acc225 // copy acc to vreg[153]
v_accvgpr_read_b32 v[vgprValuC+166], acc232 // copy acc to vreg[154]
v_accvgpr_read_b32 v[vgprValuC+167], acc233 // copy acc to vreg[155]
v_accvgpr_read_b32 v[vgprValuC+168], acc240 // copy acc to vreg[156]
v_accvgpr_read_b32 v[vgprValuC+169], acc241 // copy acc to vreg[157]
v_accvgpr_read_b32 v[vgprValuC+170], acc248 // copy acc to vreg[158]
v_accvgpr_read_b32 v[vgprValuC+171], acc249 // copy acc to vreg[159]
v_accvgpr_read_b32 v[vgprValuC+172], acc130 // copy acc to vreg[160]
v_accvgpr_read_b32 v[vgprValuC+173], acc131 // copy acc to vreg[161]
v_accvgpr_read_b32 v[vgprValuC+174], acc138 // copy acc to vreg[162]
v_accvgpr_read_b32 v[vgprValuC+175], acc139 // copy acc to vreg[163]
v_accvgpr_read_b32 v[vgprValuC+176], acc146 // copy acc to vreg[164]
v_accvgpr_read_b32 v[vgprValuC+177], acc147 // copy acc to vreg[165]
v_accvgpr_read_b32 v[vgprValuC+178], acc154 // copy acc to vreg[166]
v_accvgpr_read_b32 v[vgprValuC+179], acc155 // copy acc to vreg[167]
v_accvgpr_read_b32 v[vgprValuC+180], acc162 // copy acc to vreg[168]
v_accvgpr_read_b32 v[vgprValuC+181], acc163 // copy acc to vreg[169]
v_accvgpr_read_b32 v[vgprValuC+182], acc170 // copy acc to vreg[170]
v_accvgpr_read_b32 v[vgprValuC+183], acc171 // copy acc to vreg[171]
v_accvgpr_read_b32 v[vgprValuC+184], acc178 // copy acc to vreg[172]
v_accvgpr_read_b32 v[vgprValuC+185], acc179 // copy acc to vreg[173]
v_accvgpr_read_b32 v[vgprValuC+186], acc186 // copy acc to vreg[174]
v_accvgpr_read_b32 v[vgprValuC+187], acc187 // copy acc to vreg[175]
v_accvgpr_read_b32 v[vgprValuC+188], acc194 // copy acc to vreg[176]
v_accvgpr_read_b32 v[vgprValuC+189], acc195 // copy acc to vreg[177]
v_accvgpr_read_b32 v[vgprValuC+190], acc202 // copy acc to vreg[178]
v_accvgpr_read_b32 v[vgprValuC+191], acc203 // copy acc to vreg[179]
v_accvgpr_read_b32 v[vgprValuC+192], acc210 // copy acc to vreg[180]
v_accvgpr_read_b32 v[vgprValuC+193], acc211 // copy acc to vreg[181]
v_accvgpr_read_b32 v[vgprValuC+194], acc218 // copy acc to vreg[182]
v_accvgpr_read_b32 v[vgprValuC+195], acc219 // copy acc to vreg[183]
v_accvgpr_read_b32 v[vgprValuC+196], acc226 // copy acc to vreg[184]
v_accvgpr_read_b32 v[vgprValuC+197], acc227 // copy acc to vreg[185]
v_accvgpr_read_b32 v[vgprValuC+198], acc234 // copy acc to vreg[186]
v_accvgpr_read_b32 v[vgprValuC+199], acc235 // copy acc to vreg[187]
v_accvgpr_read_b32 v[vgprValuC+200], acc242 // copy acc to vreg[188]
v_accvgpr_read_b32 v[vgprValuC+201], acc243 // copy acc to vreg[189]
v_accvgpr_read_b32 v[vgprValuC+202], acc250 // copy acc to vreg[190]
v_accvgpr_read_b32 v[vgprValuC+203], acc251 // copy acc to vreg[191]
v_accvgpr_read_b32 v[vgprValuC+204], acc132 // copy acc to vreg[192]
v_accvgpr_read_b32 v[vgprValuC+205], acc133 // copy acc to vreg[193]
v_accvgpr_read_b32 v[vgprValuC+206], acc140 // copy acc to vreg[194]
v_accvgpr_read_b32 v[vgprValuC+207], acc141 // copy acc to vreg[195]
v_accvgpr_read_b32 v[vgprValuC+208], acc148 // copy acc to vreg[196]
v_accvgpr_read_b32 v[vgprValuC+209], acc149 // copy acc to vreg[197]
v_accvgpr_read_b32 v[vgprValuC+210], acc156 // copy acc to vreg[198]
v_accvgpr_read_b32 v[vgprValuC+211], acc157 // copy acc to vreg[199]
v_accvgpr_read_b32 v[vgprValuC+212], acc164 // copy acc to vreg[200]
v_accvgpr_read_b32 v[vgprValuC+213], acc165 // copy acc to vreg[201]
v_accvgpr_read_b32 v[vgprValuC+214], acc172 // copy acc to vreg[202]
v_accvgpr_read_b32 v[vgprValuC+215], acc173 // copy acc to vreg[203]
v_accvgpr_read_b32 v[vgprValuC+216], acc180 // copy acc to vreg[204]
v_accvgpr_read_b32 v[vgprValuC+217], acc181 // copy acc to vreg[205]
v_accvgpr_read_b32 v[vgprValuC+218], acc188 // copy acc to vreg[206]
v_accvgpr_read_b32 v[vgprValuC+219], acc189 // copy acc to vreg[207]
v_accvgpr_read_b32 v[vgprValuC+220], acc196 // copy acc to vreg[208]
v_accvgpr_read_b32 v[vgprValuC+221], acc197 // copy acc to vreg[209]
v_accvgpr_read_b32 v[vgprValuC+222], acc204 // copy acc to vreg[210]
v_accvgpr_read_b32 v[vgprValuC+223], acc205 // copy acc to vreg[211]
v_accvgpr_read_b32 v[vgprValuC+224], acc212 // copy acc to vreg[212]
v_accvgpr_read_b32 v[vgprValuC+225], acc213 // copy acc to vreg[213]
v_accvgpr_read_b32 v[vgprValuC+226], acc220 // copy acc to vreg[214]
v_accvgpr_read_b32 v[vgprValuC+227], acc221 // copy acc to vreg[215]
v_accvgpr_read_b32 v[vgprValuC+228], acc228 // copy acc to vreg[216]
v_accvgpr_read_b32 v[vgprValuC+229], acc229 // copy acc to vreg[217]
v_accvgpr_read_b32 v[vgprValuC+230], acc236 // copy acc to vreg[218]
v_accvgpr_read_b32 v[vgprValuC+231], acc237 // copy acc to vreg[219]
v_accvgpr_read_b32 v[vgprValuC+232], acc244 // copy acc to vreg[220]
v_accvgpr_read_b32 v[vgprValuC+233], acc245 // copy acc to vreg[221]
v_accvgpr_read_b32 v[vgprValuC+234], acc252 // copy acc to vreg[222]
v_accvgpr_read_b32 v[vgprValuC+235], acc253 // copy acc to vreg[223]
v_accvgpr_read_b32 v[vgprValuC+236], acc134 // copy acc to vreg[224]
v_accvgpr_read_b32 v[vgprValuC+237], acc135 // copy acc to vreg[225]
v_accvgpr_read_b32 v[vgprValuC+238], acc142 // copy acc to vreg[226]
v_accvgpr_read_b32 v[vgprValuC+239], acc143 // copy acc to vreg[227]
v_accvgpr_read_b32 v[vgprValuC+240], acc150 // copy acc to vreg[228]
v_accvgpr_read_b32 v[vgprValuC+241], acc151 // copy acc to vreg[229]
v_accvgpr_read_b32 v[vgprValuC+242], acc158 // copy acc to vreg[230]
v_accvgpr_read_b32 v[vgprValuC+243], acc159 // copy acc to vreg[231]
v_accvgpr_read_b32 v[vgprValuC+244], acc166 // copy acc to vreg[232]
v_accvgpr_read_b32 v[vgprValuC+245], acc167 // copy acc to vreg[233]
v_accvgpr_read_b32 v[vgprValuC+246], acc174 // copy acc to vreg[234]
v_accvgpr_read_b32 v[vgprValuC+247], acc175 // copy acc to vreg[235]
v_accvgpr_read_b32 v[vgprValuC+248], acc182 // copy acc to vreg[236]
v_accvgpr_read_b32 v[vgprValuC+249], acc183 // copy acc to vreg[237]
v_accvgpr_read_b32 v[vgprValuC+250], acc190 // copy acc to vreg[238]
v_accvgpr_read_b32 v[vgprValuC+251], acc191 // copy acc to vreg[239]
v_accvgpr_read_b32 v[vgprValuC+252], acc198 // copy acc to vreg[240]
v_accvgpr_read_b32 v[vgprValuC+253], acc199 // copy acc to vreg[241]
v_accvgpr_read_b32 v[vgprValuC+254], acc206 // copy acc to vreg[242]
v_accvgpr_read_b32 v[vgprValuC+255], acc207 // copy acc to vreg[243]
s_nop 1                                            // 2 wait states required before reading vgpr

/* rC *= alpha batchElements=[(0, 0, 0, 0), (0, 1, 0, 0), (0, 2, 0, 0), (0, 3, 0, 0), (0, 4, 0, 0), (0, 5, 0, 0), (0, 6, 0, 0), (0, 7, 0, 0), (1, 0, 0, 0), (1, 1, 0, 0), (1, 2, 0, 0), (1, 3, 0, 0), (1, 4, 0, 0), (1, 5, 0, 0), (1, 6, 0, 0), (1, 7, 0, 0), (2, 0, 0, 0), (2, 1, 0, 0), (2, 2, 0, 0), (2, 3, 0, 0), (2, 4, 0, 0), (2, 5, 0, 0), (2, 6, 0, 0), (2, 7, 0, 0), (3, 0, 0, 0), (3, 1, 0, 0), (3, 2, 0, 0), (3, 3, 0, 0), (3, 4, 0, 0), (3, 5, 0, 0), (3, 6, 0, 0), (3, 7, 0, 0), (4, 0, 0, 0), (4, 1, 0, 0), (4, 2, 0, 0), (4, 3, 0, 0), (4, 4, 0, 0), (4, 5, 0, 0), (4, 6, 0, 0), (4, 7, 0, 0), (5, 0, 0, 0), (5, 1, 0, 0), (5, 2, 0, 0), (5, 3, 0, 0), (5, 4, 0, 0), (5, 5, 0, 0), (5, 6, 0, 0), (5, 7, 0, 0), (6, 0, 0, 0), (6, 1, 0, 0), (6, 2, 0, 0), (6, 3, 0, 0), (6, 4, 0, 0), (6, 5, 0, 0), (6, 6, 0, 0), (6, 7, 0, 0), (7, 0, 0, 0), (7, 1, 0, 0), (7, 2, 0, 0), (7, 3, 0, 0), (7, 4, 0, 0)] */
v_mul_f64 v[vgprValuC+8:vgprValuC+8+1], s[sgprAlpha:sgprAlpha+1], v[vgprValuC+8:vgprValuC+8+1] // *= alpha
v_mul_f64 v[vgprValuC+10:vgprValuC+10+1], s[sgprAlpha:sgprAlpha+1], v[vgprValuC+10:vgprValuC+10+1] // *= alpha
	;; [unrolled: 1-line block ×122, first 2 shown]

/* apply mask, calc new C and issue writes */
_buffer_store_b128 v[8:11], v6, s[sgprSrdD:sgprSrdD+3], 0, offen, offset:0 // store D
_buffer_store_b128 v[12:15], v6, s[sgprSrdD:sgprSrdD+3], 0, offen, offset:1024 // store D
_buffer_store_b128 v[16:19], v6, s[sgprSrdD:sgprSrdD+3], 0, offen, offset:2048 // store D
_buffer_store_b128 v[20:23], v6, s[sgprSrdD:sgprSrdD+3], 0, offen, offset:3072 // store D
s_mov_b32 s55, 4096                                // large offset
_buffer_store_b128 v[24:27], v6, s[sgprSrdD:sgprSrdD+3], s55, offen, offset:0 // store D
s_mov_b32 s55, 5120                                // large offset
_buffer_store_b128 v[28:31], v6, s[sgprSrdD:sgprSrdD+3], s55, offen, offset:0 // store D
s_mov_b32 s55, 6144                                // large offset
_buffer_store_b128 v[32:35], v6, s[sgprSrdD:sgprSrdD+3], s55, offen, offset:0 // store D
s_mov_b32 s55, 7168                                // large offset
_buffer_store_b128 v[36:39], v6, s[sgprSrdD:sgprSrdD+3], s55, offen, offset:0 // store D
s_mul_i32 s56, s[sgprStrideD1J], 32                // scale StrideD *= numRows(4) * bpe
s_add_u32  s[sgprSrdD+0], s[sgprSrdD+0], s56       // incToNextRow: gra SRD += inc(lower)
s_addc_u32  s[sgprSrdD+1], s[sgprSrdD+1], 0        // incToNextRow: gra SRD += inc(upper)
_buffer_store_b128 v[40:43], v6, s[sgprSrdD:sgprSrdD+3], 0, offen, offset:0 // store D
_buffer_store_b128 v[44:47], v6, s[sgprSrdD:sgprSrdD+3], 0, offen, offset:1024 // store D
_buffer_store_b128 v[48:51], v6, s[sgprSrdD:sgprSrdD+3], 0, offen, offset:2048 // store D
_buffer_store_b128 v[52:55], v6, s[sgprSrdD:sgprSrdD+3], 0, offen, offset:3072 // store D
s_mov_b32 s55, 4096                                // large offset
_buffer_store_b128 v[56:59], v6, s[sgprSrdD:sgprSrdD+3], s55, offen, offset:0 // store D
s_mov_b32 s55, 5120                                // large offset
_buffer_store_b128 v[60:63], v6, s[sgprSrdD:sgprSrdD+3], s55, offen, offset:0 // store D
s_mov_b32 s55, 6144                                // large offset
_buffer_store_b128 v[64:67], v6, s[sgprSrdD:sgprSrdD+3], s55, offen, offset:0 // store D
s_mov_b32 s55, 7168                                // large offset
_buffer_store_b128 v[68:71], v6, s[sgprSrdD:sgprSrdD+3], s55, offen, offset:0 // store D
s_mul_i32 s56, s[sgprStrideD1J], 32                // scale StrideD *= numRows(4) * bpe
s_add_u32  s[sgprSrdD+0], s[sgprSrdD+0], s56       // incToNextRow: gra SRD += inc(lower)
s_addc_u32  s[sgprSrdD+1], s[sgprSrdD+1], 0        // incToNextRow: gra SRD += inc(upper)
	;; [unrolled: 15-line block ×7, first 2 shown]
_buffer_store_b128 v[236:239], v6, s[sgprSrdD:sgprSrdD+3], 0, offen, offset:0 // store D
_buffer_store_b128 v[240:243], v6, s[sgprSrdD:sgprSrdD+3], 0, offen, offset:1024 // store D
	;; [unrolled: 1-line block ×4, first 2 shown]
s_mov_b32 s55, 4096                                // large offset
_buffer_store_b128 v[252:255], v6, s[sgprSrdD:sgprSrdD+3], s55, offen, offset:0 // store D
s_nop 0                                            // 1 wait state required when next inst writes vgprs held by previous dwordx4 store inst
/* optSingleColVgpr=1 optSharedColVgpr=0 optSGPRUsage=BufferLoad_Mask optSrdIncForRow=1 */

/******************************************/
/* Global Write Alpha Batch #1 (d1,d0,vc1,vc0) = */
/*    (7,5,0,0:vw2); (7,6,0,0:vw2); (7,7,0,0:vw2) */
/******************************************/

/* calc coords, apply mask, and issue loads (if necessary) */
/* (d1,vc1,d0,vc0)=(7,0,5,0) */
/* (d1,vc1,d0,vc0)=(7,0,6,0) */
	;; [unrolled: 1-line block ×3, first 2 shown]
v_accvgpr_read_b32 v[vgprValuC+8], acc214 // copy acc to vreg[244]
v_accvgpr_read_b32 v[vgprValuC+9], acc215 // copy acc to vreg[245]
v_accvgpr_read_b32 v[vgprValuC+10], acc222 // copy acc to vreg[246]
v_accvgpr_read_b32 v[vgprValuC+11], acc223 // copy acc to vreg[247]
v_accvgpr_read_b32 v[vgprValuC+12], acc230 // copy acc to vreg[248]
v_accvgpr_read_b32 v[vgprValuC+13], acc231 // copy acc to vreg[249]
v_accvgpr_read_b32 v[vgprValuC+14], acc238 // copy acc to vreg[250]
v_accvgpr_read_b32 v[vgprValuC+15], acc239 // copy acc to vreg[251]
v_accvgpr_read_b32 v[vgprValuC+16], acc246 // copy acc to vreg[252]
v_accvgpr_read_b32 v[vgprValuC+17], acc247 // copy acc to vreg[253]
v_accvgpr_read_b32 v[vgprValuC+18], acc254 // copy acc to vreg[254]
v_accvgpr_read_b32 v[vgprValuC+19], acc255 // copy acc to vreg[255]
s_nop 1                                            // 2 wait states required before reading vgpr

/* rC *= alpha batchElements=[(7, 5, 0, 0), (7, 6, 0, 0), (7, 7, 0, 0)] */
v_mul_f64 v[vgprValuC+8:vgprValuC+8+1], s[sgprAlpha:sgprAlpha+1], v[vgprValuC+8:vgprValuC+8+1] // *= alpha
v_mul_f64 v[vgprValuC+10:vgprValuC+10+1], s[sgprAlpha:sgprAlpha+1], v[vgprValuC+10:vgprValuC+10+1] // *= alpha
	;; [unrolled: 1-line block ×6, first 2 shown]

/* apply mask, calc new C and issue writes */
s_mov_b32 s55, 5120                                // large offset
_buffer_store_b128 v[8:11], v6, s[sgprSrdD:sgprSrdD+3], s55, offen, offset:0 // store D
s_mov_b32 s55, 6144                                // large offset
_buffer_store_b128 v[12:15], v6, s[sgprSrdD:sgprSrdD+3], s55, offen, offset:0 // store D
	;; [unrolled: 2-line block ×3, first 2 shown]
s_nop 0                                            // 1 wait state required when next inst writes vgprs held by previous dwordx4 store inst
s_branch label_GW_End_46                           // jump to end
GW_B0_E1_38:

/* edge=1, allocate 6 sgpr. perBatchTmpS=4 perBatchMaskS=2 perElementMaskS=0 elementsPerBatch=48 */
/* optSingleColVgpr=0 optSharedColVgpr=0 optSGPRUsage=BufferLoad_Edge_Mask optSrdIncForRow=0 */

/******************************************/
/* Global Write Alpha Edge Batch #0 (d1,d0,vc1,vc0) = */
/*    (0,0,0,0:vw2); (0,1,0,0:vw2); (0,2,0,0:vw2); (0,3,0,0:vw2); (0,4,0,0:vw2); (0,5,0,0:vw2); (0,6,0,0:vw2); (0,7,0,0:vw2); (1,0,0,0:vw2); (1,1,0,0:vw2); (1,2,0,0:vw2); (1,3,0,0:vw2); (1,4,0,0:vw2); (1,5,0,0:vw2); (1,6,0,0:vw2); (1,7,0,0:vw2); (2,0,0,0:vw2); (2,1,0,0:vw2); (2,2,0,0:vw2); (2,3,0,0:vw2); (2,4,0,0:vw2); (2,5,0,0:vw2); (2,6,0,0:vw2); (2,7,0,0:vw2); (3,0,0,0:vw2); (3,1,0,0:vw2); (3,2,0,0:vw2); (3,3,0,0:vw2); (3,4,0,0:vw2); (3,5,0,0:vw2); (3,6,0,0:vw2); (3,7,0,0:vw2); (4,0,0,0:vw2); (4,1,0,0:vw2); (4,2,0,0:vw2); (4,3,0,0:vw2); (4,4,0,0:vw2); (4,5,0,0:vw2); (4,6,0,0:vw2); (4,7,0,0:vw2); (5,0,0,0:vw2); (5,1,0,0:vw2); (5,2,0,0:vw2); (5,3,0,0:vw2); (5,4,0,0:vw2); (5,5,0,0:vw2); (5,6,0,0:vw2); (5,7,0,0:vw2) */
/******************************************/

/* calc coords, apply mask, and issue loads (if necessary) */
/* (d1,vc1,d0,vc0)=(0,0,0,0) */
v_cmp_lt_u32 s[56:57], v0, s[sgprSizeI]            // coord0 < size0
v_cmp_lt_u32 s[60:61], v1, s[sgprSizeJ]            // coord1 < size1
s_and_b64 s[60:61], s[56:57], s[60:61]             // in0 && in1
_v_add_lshl_u32 v6, v3, v0, 0x3                    // scaleToBpe: accumulate d0 lower and *= bpe into Cin addr
v_cndmask_b32 v6, -1, v6, s[60:61]                 // LDD clip if OOB. offset
/* (d1,vc1,d0,vc0)=(0,0,1,0) */
s_mov_b32 s56, 128                                 // coordOffset0 d0=1 vc0=0
_v_add_co_u32 v4, vcc, v0, s56                     // coord0.2: coord0 += d0*sg0*VW + vc0
v_cmp_lt_u32 s[56:57], v4, s[sgprSizeI]            // coord0 < size0
v_cmp_lt_u32 s[60:61], v1, s[sgprSizeJ]            // coord1 < size1
s_and_b64 s[60:61], s[56:57], s[60:61]             // in0 && in1
_v_add_lshl_u32 v7, v3, v4, 0x3                    // scaleToBpe: accumulate d0 lower and *= bpe into Cin addr
v_cndmask_b32 v7, -1, v7, s[60:61]                 // LDD clip if OOB. offset
/* (d1,vc1,d0,vc0)=(0,0,2,0) */
s_mov_b32 s56, 256                                 // coordOffset0 d0=2 vc0=0
_v_add_co_u32 v4, vcc, v0, s56                     // coord0.2: coord0 += d0*sg0*VW + vc0
v_cmp_lt_u32 s[56:57], v4, s[sgprSizeI]            // coord0 < size0
v_cmp_lt_u32 s[60:61], v1, s[sgprSizeJ]            // coord1 < size1
s_and_b64 s[60:61], s[56:57], s[60:61]             // in0 && in1
_v_add_lshl_u32 v16, v3, v4, 0x3                   // scaleToBpe: accumulate d0 lower and *= bpe into Cin addr
v_cndmask_b32 v16, -1, v16, s[60:61]               // LDD clip if OOB. offset
/* (d1,vc1,d0,vc0)=(0,0,3,0) */
s_mov_b32 s56, 384                                 // coordOffset0 d0=3 vc0=0
_v_add_co_u32 v4, vcc, v0, s56                     // coord0.2: coord0 += d0*sg0*VW + vc0
v_cmp_lt_u32 s[56:57], v4, s[sgprSizeI]            // coord0 < size0
v_cmp_lt_u32 s[60:61], v1, s[sgprSizeJ]            // coord1 < size1
s_and_b64 s[60:61], s[56:57], s[60:61]             // in0 && in1
_v_add_lshl_u32 v17, v3, v4, 0x3                   // scaleToBpe: accumulate d0 lower and *= bpe into Cin addr
v_cndmask_b32 v17, -1, v17, s[60:61]               // LDD clip if OOB. offset
	;; [unrolled: 8-line block ×6, first 2 shown]
/* (d1,vc1,d0,vc0)=(1,0,0,0) */
_v_add_co_u32 v1, vcc, v1, 4                       // coord1.1: coord1Vgpr += d1*sg1*VW + vc1

/* Fix for UseInitialStridesCD, emitAddressSetupCode */
s_mul_i32 s56, s[sgprStrideC1J], 4                 // scale stride
_v_add_u32 v2, v2, s56                             // ROWINC- Move cinRowPtr to next row
s_mul_i32 s56, s[sgprStrideD1J], 4                 // scale stride
_v_add_u32 v3, v3, s56                             // Move coutRowPtr to next row
v_cmp_lt_u32 s[56:57], v0, s[sgprSizeI]            // coord0 < size0
v_cmp_lt_u32 s[60:61], v1, s[sgprSizeJ]            // coord1 < size1
s_and_b64 s[60:61], s[56:57], s[60:61]             // in0 && in1
_v_add_lshl_u32 v38, v3, v0, 0x3                   // scaleToBpe: accumulate d0 lower and *= bpe into Cin addr
v_cndmask_b32 v38, -1, v38, s[60:61]               // LDD clip if OOB. offset
/* (d1,vc1,d0,vc0)=(1,0,1,0) */
s_mov_b32 s56, 128                                 // coordOffset0 d0=1 vc0=0
_v_add_co_u32 v4, vcc, v0, s56                     // coord0.2: coord0 += d0*sg0*VW + vc0
v_cmp_lt_u32 s[56:57], v4, s[sgprSizeI]            // coord0 < size0
v_cmp_lt_u32 s[60:61], v1, s[sgprSizeJ]            // coord1 < size1
s_and_b64 s[60:61], s[56:57], s[60:61]             // in0 && in1
_v_add_lshl_u32 v39, v3, v4, 0x3                   // scaleToBpe: accumulate d0 lower and *= bpe into Cin addr
v_cndmask_b32 v39, -1, v39, s[60:61]               // LDD clip if OOB. offset
/* (d1,vc1,d0,vc0)=(1,0,2,0) */
s_mov_b32 s56, 256                                 // coordOffset0 d0=2 vc0=0
_v_add_co_u32 v4, vcc, v0, s56                     // coord0.2: coord0 += d0*sg0*VW + vc0
	;; [unrolled: 8-line block ×7, first 2 shown]
v_cmp_lt_u32 s[56:57], v4, s[sgprSizeI]            // coord0 < size0
v_cmp_lt_u32 s[60:61], v1, s[sgprSizeJ]            // coord1 < size1
s_and_b64 s[60:61], s[56:57], s[60:61]             // in0 && in1
_v_add_lshl_u32 v77, v3, v4, 0x3                   // scaleToBpe: accumulate d0 lower and *= bpe into Cin addr
v_cndmask_b32 v77, -1, v77, s[60:61]               // LDD clip if OOB. offset
/* (d1,vc1,d0,vc0)=(2,0,0,0) */
_v_add_co_u32 v1, vcc, v1, 4                       // coord1.1: coord1Vgpr += d1*sg1*VW + vc1

/* Fix for UseInitialStridesCD, emitAddressSetupCode */
s_mul_i32 s56, s[sgprStrideC1J], 4                 // scale stride
_v_add_u32 v2, v2, s56                             // ROWINC- Move cinRowPtr to next row
s_mul_i32 s56, s[sgprStrideD1J], 4                 // scale stride
_v_add_u32 v3, v3, s56                             // Move coutRowPtr to next row
v_cmp_lt_u32 s[56:57], v0, s[sgprSizeI]            // coord0 < size0
v_cmp_lt_u32 s[60:61], v1, s[sgprSizeJ]            // coord1 < size1
s_and_b64 s[60:61], s[56:57], s[60:61]             // in0 && in1
_v_add_lshl_u32 v78, v3, v0, 0x3                   // scaleToBpe: accumulate d0 lower and *= bpe into Cin addr
v_cndmask_b32 v78, -1, v78, s[60:61]               // LDD clip if OOB. offset
/* (d1,vc1,d0,vc0)=(2,0,1,0) */
s_mov_b32 s56, 128                                 // coordOffset0 d0=1 vc0=0
_v_add_co_u32 v4, vcc, v0, s56                     // coord0.2: coord0 += d0*sg0*VW + vc0
v_cmp_lt_u32 s[56:57], v4, s[sgprSizeI]            // coord0 < size0
v_cmp_lt_u32 s[60:61], v1, s[sgprSizeJ]            // coord1 < size1
s_and_b64 s[60:61], s[56:57], s[60:61]             // in0 && in1
_v_add_lshl_u32 v79, v3, v4, 0x3                   // scaleToBpe: accumulate d0 lower and *= bpe into Cin addr
v_cndmask_b32 v79, -1, v79, s[60:61]               // LDD clip if OOB. offset
/* (d1,vc1,d0,vc0)=(2,0,2,0) */
s_mov_b32 s56, 256                                 // coordOffset0 d0=2 vc0=0
_v_add_co_u32 v4, vcc, v0, s56                     // coord0.2: coord0 += d0*sg0*VW + vc0
	;; [unrolled: 8-line block ×6, first 2 shown]
v_cmp_lt_u32 s[56:57], v4, s[sgprSizeI]            // coord0 < size0
v_cmp_lt_u32 s[60:61], v1, s[sgprSizeJ]            // coord1 < size1
s_and_b64 s[60:61], s[56:57], s[60:61]             // in0 && in1
_v_add_lshl_u32 v116, v3, v4, 0x3                  // scaleToBpe: accumulate d0 lower and *= bpe into Cin addr
v_cndmask_b32 v116, -1, v116, s[60:61]             // LDD clip if OOB. offset
/* (d1,vc1,d0,vc0)=(2,0,7,0) */
s_mov_b32 s56, 896                                 // coordOffset0 d0=7 vc0=0
_v_add_co_u32 v4, vcc, v0, s56                     // coord0.2: coord0 += d0*sg0*VW + vc0
v_cmp_lt_u32 s[56:57], v4, s[sgprSizeI]            // coord0 < size0
v_cmp_lt_u32 s[60:61], v1, s[sgprSizeJ]            // coord1 < size1
s_and_b64 s[60:61], s[56:57], s[60:61]             // in0 && in1
_v_add_lshl_u32 v117, v3, v4, 0x3                  // scaleToBpe: accumulate d0 lower and *= bpe into Cin addr
v_cndmask_b32 v117, -1, v117, s[60:61]             // LDD clip if OOB. offset
/* (d1,vc1,d0,vc0)=(3,0,0,0) */
_v_add_co_u32 v1, vcc, v1, 4                       // coord1.1: coord1Vgpr += d1*sg1*VW + vc1

/* Fix for UseInitialStridesCD, emitAddressSetupCode */
s_mul_i32 s56, s[sgprStrideC1J], 4                 // scale stride
_v_add_u32 v2, v2, s56                             // ROWINC- Move cinRowPtr to next row
s_mul_i32 s56, s[sgprStrideD1J], 4                 // scale stride
_v_add_u32 v3, v3, s56                             // Move coutRowPtr to next row
v_cmp_lt_u32 s[56:57], v0, s[sgprSizeI]            // coord0 < size0
v_cmp_lt_u32 s[60:61], v1, s[sgprSizeJ]            // coord1 < size1
s_and_b64 s[60:61], s[56:57], s[60:61]             // in0 && in1
_v_add_lshl_u32 v118, v3, v0, 0x3                  // scaleToBpe: accumulate d0 lower and *= bpe into Cin addr
v_cndmask_b32 v118, -1, v118, s[60:61]             // LDD clip if OOB. offset
/* (d1,vc1,d0,vc0)=(3,0,1,0) */
s_mov_b32 s56, 128                                 // coordOffset0 d0=1 vc0=0
_v_add_co_u32 v4, vcc, v0, s56                     // coord0.2: coord0 += d0*sg0*VW + vc0
v_cmp_lt_u32 s[56:57], v4, s[sgprSizeI]            // coord0 < size0
v_cmp_lt_u32 s[60:61], v1, s[sgprSizeJ]            // coord1 < size1
s_and_b64 s[60:61], s[56:57], s[60:61]             // in0 && in1
_v_add_lshl_u32 v119, v3, v4, 0x3                  // scaleToBpe: accumulate d0 lower and *= bpe into Cin addr
v_cndmask_b32 v119, -1, v119, s[60:61]             // LDD clip if OOB. offset
/* (d1,vc1,d0,vc0)=(3,0,2,0) */
s_mov_b32 s56, 256                                 // coordOffset0 d0=2 vc0=0
_v_add_co_u32 v4, vcc, v0, s56                     // coord0.2: coord0 += d0*sg0*VW + vc0
	;; [unrolled: 8-line block ×7, first 2 shown]
v_cmp_lt_u32 s[56:57], v4, s[sgprSizeI]            // coord0 < size0
v_cmp_lt_u32 s[60:61], v1, s[sgprSizeJ]            // coord1 < size1
s_and_b64 s[60:61], s[56:57], s[60:61]             // in0 && in1
_v_add_lshl_u32 v159, v3, v4, 0x3                  // scaleToBpe: accumulate d0 lower and *= bpe into Cin addr
v_cndmask_b32 v159, -1, v159, s[60:61]             // LDD clip if OOB. offset
/* (d1,vc1,d0,vc0)=(4,0,0,0) */
_v_add_co_u32 v1, vcc, v1, 4                       // coord1.1: coord1Vgpr += d1*sg1*VW + vc1

/* Fix for UseInitialStridesCD, emitAddressSetupCode */
s_mul_i32 s56, s[sgprStrideC1J], 4                 // scale stride
_v_add_u32 v2, v2, s56                             // ROWINC- Move cinRowPtr to next row
s_mul_i32 s56, s[sgprStrideD1J], 4                 // scale stride
_v_add_u32 v3, v3, s56                             // Move coutRowPtr to next row
v_cmp_lt_u32 s[56:57], v0, s[sgprSizeI]            // coord0 < size0
v_cmp_lt_u32 s[60:61], v1, s[sgprSizeJ]            // coord1 < size1
s_and_b64 s[60:61], s[56:57], s[60:61]             // in0 && in1
_v_add_lshl_u32 v168, v3, v0, 0x3                  // scaleToBpe: accumulate d0 lower and *= bpe into Cin addr
v_cndmask_b32 v168, -1, v168, s[60:61]             // LDD clip if OOB. offset
/* (d1,vc1,d0,vc0)=(4,0,1,0) */
s_mov_b32 s56, 128                                 // coordOffset0 d0=1 vc0=0
_v_add_co_u32 v4, vcc, v0, s56                     // coord0.2: coord0 += d0*sg0*VW + vc0
v_cmp_lt_u32 s[56:57], v4, s[sgprSizeI]            // coord0 < size0
v_cmp_lt_u32 s[60:61], v1, s[sgprSizeJ]            // coord1 < size1
s_and_b64 s[60:61], s[56:57], s[60:61]             // in0 && in1
_v_add_lshl_u32 v169, v3, v4, 0x3                  // scaleToBpe: accumulate d0 lower and *= bpe into Cin addr
v_cndmask_b32 v169, -1, v169, s[60:61]             // LDD clip if OOB. offset
/* (d1,vc1,d0,vc0)=(4,0,2,0) */
s_mov_b32 s56, 256                                 // coordOffset0 d0=2 vc0=0
_v_add_co_u32 v4, vcc, v0, s56                     // coord0.2: coord0 += d0*sg0*VW + vc0
	;; [unrolled: 8-line block ×7, first 2 shown]
v_cmp_lt_u32 s[56:57], v4, s[sgprSizeI]            // coord0 < size0
v_cmp_lt_u32 s[60:61], v1, s[sgprSizeJ]            // coord1 < size1
s_and_b64 s[60:61], s[56:57], s[60:61]             // in0 && in1
_v_add_lshl_u32 v191, v3, v4, 0x3                  // scaleToBpe: accumulate d0 lower and *= bpe into Cin addr
v_cndmask_b32 v191, -1, v191, s[60:61]             // LDD clip if OOB. offset
/* (d1,vc1,d0,vc0)=(5,0,0,0) */
_v_add_co_u32 v1, vcc, v1, 4                       // coord1.1: coord1Vgpr += d1*sg1*VW + vc1

/* Fix for UseInitialStridesCD, emitAddressSetupCode */
s_mul_i32 s56, s[sgprStrideC1J], 4                 // scale stride
_v_add_u32 v2, v2, s56                             // ROWINC- Move cinRowPtr to next row
s_mul_i32 s56, s[sgprStrideD1J], 4                 // scale stride
_v_add_u32 v3, v3, s56                             // Move coutRowPtr to next row
v_cmp_lt_u32 s[56:57], v0, s[sgprSizeI]            // coord0 < size0
v_cmp_lt_u32 s[60:61], v1, s[sgprSizeJ]            // coord1 < size1
s_and_b64 s[60:61], s[56:57], s[60:61]             // in0 && in1
_v_add_lshl_u32 v208, v3, v0, 0x3                  // scaleToBpe: accumulate d0 lower and *= bpe into Cin addr
v_cndmask_b32 v208, -1, v208, s[60:61]             // LDD clip if OOB. offset
/* (d1,vc1,d0,vc0)=(5,0,1,0) */
s_mov_b32 s56, 128                                 // coordOffset0 d0=1 vc0=0
_v_add_co_u32 v4, vcc, v0, s56                     // coord0.2: coord0 += d0*sg0*VW + vc0
v_cmp_lt_u32 s[56:57], v4, s[sgprSizeI]            // coord0 < size0
v_cmp_lt_u32 s[60:61], v1, s[sgprSizeJ]            // coord1 < size1
s_and_b64 s[60:61], s[56:57], s[60:61]             // in0 && in1
_v_add_lshl_u32 v209, v3, v4, 0x3                  // scaleToBpe: accumulate d0 lower and *= bpe into Cin addr
v_cndmask_b32 v209, -1, v209, s[60:61]             // LDD clip if OOB. offset
/* (d1,vc1,d0,vc0)=(5,0,2,0) */
s_mov_b32 s56, 256                                 // coordOffset0 d0=2 vc0=0
_v_add_co_u32 v4, vcc, v0, s56                     // coord0.2: coord0 += d0*sg0*VW + vc0
	;; [unrolled: 8-line block ×7, first 2 shown]
v_cmp_lt_u32 s[56:57], v4, s[sgprSizeI]            // coord0 < size0
v_cmp_lt_u32 s[60:61], v1, s[sgprSizeJ]            // coord1 < size1
s_and_b64 s[60:61], s[56:57], s[60:61]             // in0 && in1
_v_add_lshl_u32 v231, v3, v4, 0x3                  // scaleToBpe: accumulate d0 lower and *= bpe into Cin addr
v_cndmask_b32 v231, -1, v231, s[60:61]             // LDD clip if OOB. offset
v_accvgpr_read_b32 v[vgprValuC+8], acc0 // copy acc to vreg[0]
v_accvgpr_read_b32 v[vgprValuC+9], acc1 // copy acc to vreg[1]
v_accvgpr_read_b32 v[vgprValuC+10], acc8 // copy acc to vreg[2]
v_accvgpr_read_b32 v[vgprValuC+11], acc9 // copy acc to vreg[3]
v_accvgpr_read_b32 v[vgprValuC+12], acc16 // copy acc to vreg[4]
v_accvgpr_read_b32 v[vgprValuC+13], acc17 // copy acc to vreg[5]
v_accvgpr_read_b32 v[vgprValuC+14], acc24 // copy acc to vreg[6]
v_accvgpr_read_b32 v[vgprValuC+15], acc25 // copy acc to vreg[7]
v_accvgpr_read_b32 v[vgprValuC+20], acc32 // copy acc to vreg[8]
v_accvgpr_read_b32 v[vgprValuC+21], acc33 // copy acc to vreg[9]
v_accvgpr_read_b32 v[vgprValuC+22], acc40 // copy acc to vreg[10]
v_accvgpr_read_b32 v[vgprValuC+23], acc41 // copy acc to vreg[11]
v_accvgpr_read_b32 v[vgprValuC+24], acc48 // copy acc to vreg[12]
v_accvgpr_read_b32 v[vgprValuC+25], acc49 // copy acc to vreg[13]
v_accvgpr_read_b32 v[vgprValuC+26], acc56 // copy acc to vreg[14]
v_accvgpr_read_b32 v[vgprValuC+27], acc57 // copy acc to vreg[15]
v_accvgpr_read_b32 v[vgprValuC+28], acc64 // copy acc to vreg[16]
v_accvgpr_read_b32 v[vgprValuC+29], acc65 // copy acc to vreg[17]
v_accvgpr_read_b32 v[vgprValuC+30], acc72 // copy acc to vreg[18]
v_accvgpr_read_b32 v[vgprValuC+31], acc73 // copy acc to vreg[19]
v_accvgpr_read_b32 v[vgprValuC+32], acc80 // copy acc to vreg[20]
v_accvgpr_read_b32 v[vgprValuC+33], acc81 // copy acc to vreg[21]
v_accvgpr_read_b32 v[vgprValuC+34], acc88 // copy acc to vreg[22]
v_accvgpr_read_b32 v[vgprValuC+35], acc89 // copy acc to vreg[23]
v_accvgpr_read_b32 v[vgprValuC+40], acc96 // copy acc to vreg[24]
v_accvgpr_read_b32 v[vgprValuC+41], acc97 // copy acc to vreg[25]
v_accvgpr_read_b32 v[vgprValuC+42], acc104 // copy acc to vreg[26]
v_accvgpr_read_b32 v[vgprValuC+43], acc105 // copy acc to vreg[27]
v_accvgpr_read_b32 v[vgprValuC+44], acc112 // copy acc to vreg[28]
v_accvgpr_read_b32 v[vgprValuC+45], acc113 // copy acc to vreg[29]
v_accvgpr_read_b32 v[vgprValuC+46], acc120 // copy acc to vreg[30]
v_accvgpr_read_b32 v[vgprValuC+47], acc121 // copy acc to vreg[31]
v_accvgpr_read_b32 v[vgprValuC+48], acc2 // copy acc to vreg[32]
v_accvgpr_read_b32 v[vgprValuC+49], acc3 // copy acc to vreg[33]
v_accvgpr_read_b32 v[vgprValuC+50], acc10 // copy acc to vreg[34]
v_accvgpr_read_b32 v[vgprValuC+51], acc11 // copy acc to vreg[35]
v_accvgpr_read_b32 v[vgprValuC+52], acc18 // copy acc to vreg[36]
v_accvgpr_read_b32 v[vgprValuC+53], acc19 // copy acc to vreg[37]
v_accvgpr_read_b32 v[vgprValuC+54], acc26 // copy acc to vreg[38]
v_accvgpr_read_b32 v[vgprValuC+55], acc27 // copy acc to vreg[39]
v_accvgpr_read_b32 v[vgprValuC+60], acc34 // copy acc to vreg[40]
v_accvgpr_read_b32 v[vgprValuC+61], acc35 // copy acc to vreg[41]
v_accvgpr_read_b32 v[vgprValuC+62], acc42 // copy acc to vreg[42]
v_accvgpr_read_b32 v[vgprValuC+63], acc43 // copy acc to vreg[43]
v_accvgpr_read_b32 v[vgprValuC+64], acc50 // copy acc to vreg[44]
v_accvgpr_read_b32 v[vgprValuC+65], acc51 // copy acc to vreg[45]
v_accvgpr_read_b32 v[vgprValuC+66], acc58 // copy acc to vreg[46]
v_accvgpr_read_b32 v[vgprValuC+67], acc59 // copy acc to vreg[47]
v_accvgpr_read_b32 v[vgprValuC+68], acc66 // copy acc to vreg[48]
v_accvgpr_read_b32 v[vgprValuC+69], acc67 // copy acc to vreg[49]
v_accvgpr_read_b32 v[vgprValuC+70], acc74 // copy acc to vreg[50]
v_accvgpr_read_b32 v[vgprValuC+71], acc75 // copy acc to vreg[51]
v_accvgpr_read_b32 v[vgprValuC+72], acc82 // copy acc to vreg[52]
v_accvgpr_read_b32 v[vgprValuC+73], acc83 // copy acc to vreg[53]
v_accvgpr_read_b32 v[vgprValuC+74], acc90 // copy acc to vreg[54]
v_accvgpr_read_b32 v[vgprValuC+75], acc91 // copy acc to vreg[55]
v_accvgpr_read_b32 v[vgprValuC+80], acc98 // copy acc to vreg[56]
v_accvgpr_read_b32 v[vgprValuC+81], acc99 // copy acc to vreg[57]
v_accvgpr_read_b32 v[vgprValuC+82], acc106 // copy acc to vreg[58]
v_accvgpr_read_b32 v[vgprValuC+83], acc107 // copy acc to vreg[59]
v_accvgpr_read_b32 v[vgprValuC+84], acc114 // copy acc to vreg[60]
v_accvgpr_read_b32 v[vgprValuC+85], acc115 // copy acc to vreg[61]
v_accvgpr_read_b32 v[vgprValuC+86], acc122 // copy acc to vreg[62]
v_accvgpr_read_b32 v[vgprValuC+87], acc123 // copy acc to vreg[63]
v_accvgpr_read_b32 v[vgprValuC+88], acc4 // copy acc to vreg[64]
v_accvgpr_read_b32 v[vgprValuC+89], acc5 // copy acc to vreg[65]
v_accvgpr_read_b32 v[vgprValuC+90], acc12 // copy acc to vreg[66]
v_accvgpr_read_b32 v[vgprValuC+91], acc13 // copy acc to vreg[67]
v_accvgpr_read_b32 v[vgprValuC+92], acc20 // copy acc to vreg[68]
v_accvgpr_read_b32 v[vgprValuC+93], acc21 // copy acc to vreg[69]
v_accvgpr_read_b32 v[vgprValuC+94], acc28 // copy acc to vreg[70]
v_accvgpr_read_b32 v[vgprValuC+95], acc29 // copy acc to vreg[71]
v_accvgpr_read_b32 v[vgprValuC+100], acc36 // copy acc to vreg[72]
v_accvgpr_read_b32 v[vgprValuC+101], acc37 // copy acc to vreg[73]
v_accvgpr_read_b32 v[vgprValuC+102], acc44 // copy acc to vreg[74]
v_accvgpr_read_b32 v[vgprValuC+103], acc45 // copy acc to vreg[75]
v_accvgpr_read_b32 v[vgprValuC+104], acc52 // copy acc to vreg[76]
v_accvgpr_read_b32 v[vgprValuC+105], acc53 // copy acc to vreg[77]
v_accvgpr_read_b32 v[vgprValuC+106], acc60 // copy acc to vreg[78]
v_accvgpr_read_b32 v[vgprValuC+107], acc61 // copy acc to vreg[79]
v_accvgpr_read_b32 v[vgprValuC+108], acc68 // copy acc to vreg[80]
v_accvgpr_read_b32 v[vgprValuC+109], acc69 // copy acc to vreg[81]
v_accvgpr_read_b32 v[vgprValuC+110], acc76 // copy acc to vreg[82]
v_accvgpr_read_b32 v[vgprValuC+111], acc77 // copy acc to vreg[83]
v_accvgpr_read_b32 v[vgprValuC+112], acc84 // copy acc to vreg[84]
v_accvgpr_read_b32 v[vgprValuC+113], acc85 // copy acc to vreg[85]
v_accvgpr_read_b32 v[vgprValuC+114], acc92 // copy acc to vreg[86]
v_accvgpr_read_b32 v[vgprValuC+115], acc93 // copy acc to vreg[87]
v_accvgpr_read_b32 v[vgprValuC+120], acc100 // copy acc to vreg[88]
v_accvgpr_read_b32 v[vgprValuC+121], acc101 // copy acc to vreg[89]
v_accvgpr_read_b32 v[vgprValuC+122], acc108 // copy acc to vreg[90]
v_accvgpr_read_b32 v[vgprValuC+123], acc109 // copy acc to vreg[91]
v_accvgpr_read_b32 v[vgprValuC+124], acc116 // copy acc to vreg[92]
v_accvgpr_read_b32 v[vgprValuC+125], acc117 // copy acc to vreg[93]
v_accvgpr_read_b32 v[vgprValuC+126], acc124 // copy acc to vreg[94]
v_accvgpr_read_b32 v[vgprValuC+127], acc125 // copy acc to vreg[95]
v_accvgpr_read_b32 v[vgprValuC+128], acc6 // copy acc to vreg[96]
v_accvgpr_read_b32 v[vgprValuC+129], acc7 // copy acc to vreg[97]
v_accvgpr_read_b32 v[vgprValuC+130], acc14 // copy acc to vreg[98]
v_accvgpr_read_b32 v[vgprValuC+131], acc15 // copy acc to vreg[99]
v_accvgpr_read_b32 v[vgprValuC+132], acc22 // copy acc to vreg[100]
v_accvgpr_read_b32 v[vgprValuC+133], acc23 // copy acc to vreg[101]
v_accvgpr_read_b32 v[vgprValuC+134], acc30 // copy acc to vreg[102]
v_accvgpr_read_b32 v[vgprValuC+135], acc31 // copy acc to vreg[103]
v_accvgpr_read_b32 v[vgprValuC+140], acc38 // copy acc to vreg[104]
v_accvgpr_read_b32 v[vgprValuC+141], acc39 // copy acc to vreg[105]
v_accvgpr_read_b32 v[vgprValuC+142], acc46 // copy acc to vreg[106]
v_accvgpr_read_b32 v[vgprValuC+143], acc47 // copy acc to vreg[107]
v_accvgpr_read_b32 v[vgprValuC+144], acc54 // copy acc to vreg[108]
v_accvgpr_read_b32 v[vgprValuC+145], acc55 // copy acc to vreg[109]
v_accvgpr_read_b32 v[vgprValuC+146], acc62 // copy acc to vreg[110]
v_accvgpr_read_b32 v[vgprValuC+147], acc63 // copy acc to vreg[111]
v_accvgpr_read_b32 v[vgprValuC+148], acc70 // copy acc to vreg[112]
v_accvgpr_read_b32 v[vgprValuC+149], acc71 // copy acc to vreg[113]
v_accvgpr_read_b32 v[vgprValuC+150], acc78 // copy acc to vreg[114]
v_accvgpr_read_b32 v[vgprValuC+151], acc79 // copy acc to vreg[115]
v_accvgpr_read_b32 v[vgprValuC+152], acc86 // copy acc to vreg[116]
v_accvgpr_read_b32 v[vgprValuC+153], acc87 // copy acc to vreg[117]
v_accvgpr_read_b32 v[vgprValuC+154], acc94 // copy acc to vreg[118]
v_accvgpr_read_b32 v[vgprValuC+155], acc95 // copy acc to vreg[119]
v_accvgpr_read_b32 v[vgprValuC+160], acc102 // copy acc to vreg[120]
v_accvgpr_read_b32 v[vgprValuC+161], acc103 // copy acc to vreg[121]
v_accvgpr_read_b32 v[vgprValuC+162], acc110 // copy acc to vreg[122]
v_accvgpr_read_b32 v[vgprValuC+163], acc111 // copy acc to vreg[123]
v_accvgpr_read_b32 v[vgprValuC+164], acc118 // copy acc to vreg[124]
v_accvgpr_read_b32 v[vgprValuC+165], acc119 // copy acc to vreg[125]
v_accvgpr_read_b32 v[vgprValuC+166], acc126 // copy acc to vreg[126]
v_accvgpr_read_b32 v[vgprValuC+167], acc127 // copy acc to vreg[127]
v_accvgpr_read_b32 v[vgprValuC+172], acc128 // copy acc to vreg[128]
v_accvgpr_read_b32 v[vgprValuC+173], acc129 // copy acc to vreg[129]
v_accvgpr_read_b32 v[vgprValuC+174], acc136 // copy acc to vreg[130]
v_accvgpr_read_b32 v[vgprValuC+175], acc137 // copy acc to vreg[131]
v_accvgpr_read_b32 v[vgprValuC+176], acc144 // copy acc to vreg[132]
v_accvgpr_read_b32 v[vgprValuC+177], acc145 // copy acc to vreg[133]
v_accvgpr_read_b32 v[vgprValuC+178], acc152 // copy acc to vreg[134]
v_accvgpr_read_b32 v[vgprValuC+179], acc153 // copy acc to vreg[135]
v_accvgpr_read_b32 v[vgprValuC+180], acc160 // copy acc to vreg[136]
v_accvgpr_read_b32 v[vgprValuC+181], acc161 // copy acc to vreg[137]
v_accvgpr_read_b32 v[vgprValuC+182], acc168 // copy acc to vreg[138]
v_accvgpr_read_b32 v[vgprValuC+183], acc169 // copy acc to vreg[139]
v_accvgpr_read_b32 v[vgprValuC+184], acc176 // copy acc to vreg[140]
v_accvgpr_read_b32 v[vgprValuC+185], acc177 // copy acc to vreg[141]
v_accvgpr_read_b32 v[vgprValuC+186], acc184 // copy acc to vreg[142]
v_accvgpr_read_b32 v[vgprValuC+187], acc185 // copy acc to vreg[143]
v_accvgpr_read_b32 v[vgprValuC+192], acc192 // copy acc to vreg[144]
v_accvgpr_read_b32 v[vgprValuC+193], acc193 // copy acc to vreg[145]
v_accvgpr_read_b32 v[vgprValuC+194], acc200 // copy acc to vreg[146]
v_accvgpr_read_b32 v[vgprValuC+195], acc201 // copy acc to vreg[147]
v_accvgpr_read_b32 v[vgprValuC+196], acc208 // copy acc to vreg[148]
v_accvgpr_read_b32 v[vgprValuC+197], acc209 // copy acc to vreg[149]
v_accvgpr_read_b32 v[vgprValuC+198], acc216 // copy acc to vreg[150]
v_accvgpr_read_b32 v[vgprValuC+199], acc217 // copy acc to vreg[151]
v_accvgpr_read_b32 v[vgprValuC+200], acc224 // copy acc to vreg[152]
v_accvgpr_read_b32 v[vgprValuC+201], acc225 // copy acc to vreg[153]
v_accvgpr_read_b32 v[vgprValuC+202], acc232 // copy acc to vreg[154]
v_accvgpr_read_b32 v[vgprValuC+203], acc233 // copy acc to vreg[155]
v_accvgpr_read_b32 v[vgprValuC+204], acc240 // copy acc to vreg[156]
v_accvgpr_read_b32 v[vgprValuC+205], acc241 // copy acc to vreg[157]
v_accvgpr_read_b32 v[vgprValuC+206], acc248 // copy acc to vreg[158]
v_accvgpr_read_b32 v[vgprValuC+207], acc249 // copy acc to vreg[159]
v_accvgpr_read_b32 v[vgprValuC+212], acc130 // copy acc to vreg[160]
v_accvgpr_read_b32 v[vgprValuC+213], acc131 // copy acc to vreg[161]
v_accvgpr_read_b32 v[vgprValuC+214], acc138 // copy acc to vreg[162]
v_accvgpr_read_b32 v[vgprValuC+215], acc139 // copy acc to vreg[163]
v_accvgpr_read_b32 v[vgprValuC+216], acc146 // copy acc to vreg[164]
v_accvgpr_read_b32 v[vgprValuC+217], acc147 // copy acc to vreg[165]
v_accvgpr_read_b32 v[vgprValuC+218], acc154 // copy acc to vreg[166]
v_accvgpr_read_b32 v[vgprValuC+219], acc155 // copy acc to vreg[167]
v_accvgpr_read_b32 v[vgprValuC+220], acc162 // copy acc to vreg[168]
v_accvgpr_read_b32 v[vgprValuC+221], acc163 // copy acc to vreg[169]
v_accvgpr_read_b32 v[vgprValuC+222], acc170 // copy acc to vreg[170]
v_accvgpr_read_b32 v[vgprValuC+223], acc171 // copy acc to vreg[171]
v_accvgpr_read_b32 v[vgprValuC+224], acc178 // copy acc to vreg[172]
v_accvgpr_read_b32 v[vgprValuC+225], acc179 // copy acc to vreg[173]
v_accvgpr_read_b32 v[vgprValuC+226], acc186 // copy acc to vreg[174]
v_accvgpr_read_b32 v[vgprValuC+227], acc187 // copy acc to vreg[175]
v_accvgpr_read_b32 v[vgprValuC+232], acc194 // copy acc to vreg[176]
v_accvgpr_read_b32 v[vgprValuC+233], acc195 // copy acc to vreg[177]
v_accvgpr_read_b32 v[vgprValuC+234], acc202 // copy acc to vreg[178]
v_accvgpr_read_b32 v[vgprValuC+235], acc203 // copy acc to vreg[179]
v_accvgpr_read_b32 v[vgprValuC+236], acc210 // copy acc to vreg[180]
v_accvgpr_read_b32 v[vgprValuC+237], acc211 // copy acc to vreg[181]
v_accvgpr_read_b32 v[vgprValuC+238], acc218 // copy acc to vreg[182]
v_accvgpr_read_b32 v[vgprValuC+239], acc219 // copy acc to vreg[183]
v_accvgpr_read_b32 v[vgprValuC+240], acc226 // copy acc to vreg[184]
v_accvgpr_read_b32 v[vgprValuC+241], acc227 // copy acc to vreg[185]
v_accvgpr_read_b32 v[vgprValuC+242], acc234 // copy acc to vreg[186]
v_accvgpr_read_b32 v[vgprValuC+243], acc235 // copy acc to vreg[187]
v_accvgpr_read_b32 v[vgprValuC+244], acc242 // copy acc to vreg[188]
v_accvgpr_read_b32 v[vgprValuC+245], acc243 // copy acc to vreg[189]
v_accvgpr_read_b32 v[vgprValuC+246], acc250 // copy acc to vreg[190]
v_accvgpr_read_b32 v[vgprValuC+247], acc251 // copy acc to vreg[191]
s_nop 1                                            // 2 wait states required before reading vgpr

/* rC *= alpha batchElements=[(0, 0, 0, 0), (0, 1, 0, 0), (0, 2, 0, 0), (0, 3, 0, 0), (0, 4, 0, 0), (0, 5, 0, 0), (0, 6, 0, 0), (0, 7, 0, 0), (1, 0, 0, 0), (1, 1, 0, 0), (1, 2, 0, 0), (1, 3, 0, 0), (1, 4, 0, 0), (1, 5, 0, 0), (1, 6, 0, 0), (1, 7, 0, 0), (2, 0, 0, 0), (2, 1, 0, 0), (2, 2, 0, 0), (2, 3, 0, 0), (2, 4, 0, 0), (2, 5, 0, 0), (2, 6, 0, 0), (2, 7, 0, 0), (3, 0, 0, 0), (3, 1, 0, 0), (3, 2, 0, 0), (3, 3, 0, 0), (3, 4, 0, 0), (3, 5, 0, 0), (3, 6, 0, 0), (3, 7, 0, 0), (4, 0, 0, 0), (4, 1, 0, 0), (4, 2, 0, 0), (4, 3, 0, 0), (4, 4, 0, 0), (4, 5, 0, 0), (4, 6, 0, 0), (4, 7, 0, 0), (5, 0, 0, 0), (5, 1, 0, 0), (5, 2, 0, 0), (5, 3, 0, 0), (5, 4, 0, 0), (5, 5, 0, 0), (5, 6, 0, 0), (5, 7, 0, 0)] */
v_mul_f64 v[vgprValuC+8:vgprValuC+8+1], s[sgprAlpha:sgprAlpha+1], v[vgprValuC+8:vgprValuC+8+1] // *= alpha
v_mul_f64 v[vgprValuC+10:vgprValuC+10+1], s[sgprAlpha:sgprAlpha+1], v[vgprValuC+10:vgprValuC+10+1] // *= alpha
	;; [unrolled: 1-line block ×96, first 2 shown]

/* apply mask, calc new C and issue writes */
_buffer_store_b128 v[8:11], v6, s[sgprSrdD:sgprSrdD+3], 0, offen, offset:0 // store D
_buffer_store_b128 v[12:15], v7, s[sgprSrdD:sgprSrdD+3], 0, offen, offset:0 // store D
	;; [unrolled: 1-line block ×48, first 2 shown]
s_nop 0                                            // 1 wait state required when next inst writes vgprs held by previous dwordx4 store inst
/* optSingleColVgpr=0 optSharedColVgpr=0 optSGPRUsage=BufferLoad_Edge_Mask optSrdIncForRow=0 */

/******************************************/
/* Global Write Alpha Edge Batch #1 (d1,d0,vc1,vc0) = */
/*    (6,0,0,0:vw2); (6,1,0,0:vw2); (6,2,0,0:vw2); (6,3,0,0:vw2); (6,4,0,0:vw2); (6,5,0,0:vw2); (6,6,0,0:vw2); (6,7,0,0:vw2); (7,0,0,0:vw2); (7,1,0,0:vw2); (7,2,0,0:vw2); (7,3,0,0:vw2); (7,4,0,0:vw2); (7,5,0,0:vw2); (7,6,0,0:vw2); (7,7,0,0:vw2) */
/******************************************/

/* calc coords, apply mask, and issue loads (if necessary) */
/* (d1,vc1,d0,vc0)=(6,0,0,0) */
_v_add_co_u32 v1, vcc, v1, 4                       // coord1.1: coord1Vgpr += d1*sg1*VW + vc1

/* Fix for UseInitialStridesCD, emitAddressSetupCode */
s_mul_i32 s56, s[sgprStrideC1J], 4                 // scale stride
_v_add_u32 v2, v2, s56                             // ROWINC- Move cinRowPtr to next row
s_mul_i32 s56, s[sgprStrideD1J], 4                 // scale stride
_v_add_u32 v3, v3, s56                             // Move coutRowPtr to next row
v_cmp_lt_u32 s[56:57], v0, s[sgprSizeI]            // coord0 < size0
v_cmp_lt_u32 s[60:61], v1, s[sgprSizeJ]            // coord1 < size1
s_and_b64 s[60:61], s[56:57], s[60:61]             // in0 && in1
_v_add_lshl_u32 v6, v3, v0, 0x3                    // scaleToBpe: accumulate d0 lower and *= bpe into Cin addr
v_cndmask_b32 v6, -1, v6, s[60:61]                 // LDD clip if OOB. offset
/* (d1,vc1,d0,vc0)=(6,0,1,0) */
s_mov_b32 s56, 128                                 // coordOffset0 d0=1 vc0=0
_v_add_co_u32 v4, vcc, v0, s56                     // coord0.2: coord0 += d0*sg0*VW + vc0
v_cmp_lt_u32 s[56:57], v4, s[sgprSizeI]            // coord0 < size0
v_cmp_lt_u32 s[60:61], v1, s[sgprSizeJ]            // coord1 < size1
s_and_b64 s[60:61], s[56:57], s[60:61]             // in0 && in1
_v_add_lshl_u32 v7, v3, v4, 0x3                    // scaleToBpe: accumulate d0 lower and *= bpe into Cin addr
v_cndmask_b32 v7, -1, v7, s[60:61]                 // LDD clip if OOB. offset
/* (d1,vc1,d0,vc0)=(6,0,2,0) */
s_mov_b32 s56, 256                                 // coordOffset0 d0=2 vc0=0
_v_add_co_u32 v4, vcc, v0, s56                     // coord0.2: coord0 += d0*sg0*VW + vc0
v_cmp_lt_u32 s[56:57], v4, s[sgprSizeI]            // coord0 < size0
v_cmp_lt_u32 s[60:61], v1, s[sgprSizeJ]            // coord1 < size1
s_and_b64 s[60:61], s[56:57], s[60:61]             // in0 && in1
_v_add_lshl_u32 v16, v3, v4, 0x3                   // scaleToBpe: accumulate d0 lower and *= bpe into Cin addr
v_cndmask_b32 v16, -1, v16, s[60:61]               // LDD clip if OOB. offset
/* (d1,vc1,d0,vc0)=(6,0,3,0) */
s_mov_b32 s56, 384                                 // coordOffset0 d0=3 vc0=0
_v_add_co_u32 v4, vcc, v0, s56                     // coord0.2: coord0 += d0*sg0*VW + vc0
v_cmp_lt_u32 s[56:57], v4, s[sgprSizeI]            // coord0 < size0
v_cmp_lt_u32 s[60:61], v1, s[sgprSizeJ]            // coord1 < size1
s_and_b64 s[60:61], s[56:57], s[60:61]             // in0 && in1
_v_add_lshl_u32 v17, v3, v4, 0x3                   // scaleToBpe: accumulate d0 lower and *= bpe into Cin addr
v_cndmask_b32 v17, -1, v17, s[60:61]               // LDD clip if OOB. offset
	;; [unrolled: 8-line block ×6, first 2 shown]
/* (d1,vc1,d0,vc0)=(7,0,0,0) */
_v_add_co_u32 v1, vcc, v1, 4                       // coord1.1: coord1Vgpr += d1*sg1*VW + vc1

/* Fix for UseInitialStridesCD, emitAddressSetupCode */
s_mul_i32 s56, s[sgprStrideC1J], 4                 // scale stride
_v_add_u32 v2, v2, s56                             // ROWINC- Move cinRowPtr to next row
s_mul_i32 s56, s[sgprStrideD1J], 4                 // scale stride
_v_add_u32 v3, v3, s56                             // Move coutRowPtr to next row
v_cmp_lt_u32 s[56:57], v0, s[sgprSizeI]            // coord0 < size0
v_cmp_lt_u32 s[60:61], v1, s[sgprSizeJ]            // coord1 < size1
s_and_b64 s[60:61], s[56:57], s[60:61]             // in0 && in1
_v_add_lshl_u32 v38, v3, v0, 0x3                   // scaleToBpe: accumulate d0 lower and *= bpe into Cin addr
v_cndmask_b32 v38, -1, v38, s[60:61]               // LDD clip if OOB. offset
/* (d1,vc1,d0,vc0)=(7,0,1,0) */
s_mov_b32 s56, 128                                 // coordOffset0 d0=1 vc0=0
_v_add_co_u32 v4, vcc, v0, s56                     // coord0.2: coord0 += d0*sg0*VW + vc0
v_cmp_lt_u32 s[56:57], v4, s[sgprSizeI]            // coord0 < size0
v_cmp_lt_u32 s[60:61], v1, s[sgprSizeJ]            // coord1 < size1
s_and_b64 s[60:61], s[56:57], s[60:61]             // in0 && in1
_v_add_lshl_u32 v39, v3, v4, 0x3                   // scaleToBpe: accumulate d0 lower and *= bpe into Cin addr
v_cndmask_b32 v39, -1, v39, s[60:61]               // LDD clip if OOB. offset
/* (d1,vc1,d0,vc0)=(7,0,2,0) */
s_mov_b32 s56, 256                                 // coordOffset0 d0=2 vc0=0
_v_add_co_u32 v4, vcc, v0, s56                     // coord0.2: coord0 += d0*sg0*VW + vc0
v_cmp_lt_u32 s[56:57], v4, s[sgprSizeI]            // coord0 < size0
v_cmp_lt_u32 s[60:61], v1, s[sgprSizeJ]            // coord1 < size1
s_and_b64 s[60:61], s[56:57], s[60:61]             // in0 && in1
_v_add_lshl_u32 v56, v3, v4, 0x3                   // scaleToBpe: accumulate d0 lower and *= bpe into Cin addr
v_cndmask_b32 v56, -1, v56, s[60:61]               // LDD clip if OOB. offset
/* (d1,vc1,d0,vc0)=(7,0,3,0) */
s_mov_b32 s56, 384                                 // coordOffset0 d0=3 vc0=0
_v_add_co_u32 v4, vcc, v0, s56                     // coord0.2: coord0 += d0*sg0*VW + vc0
v_cmp_lt_u32 s[56:57], v4, s[sgprSizeI]            // coord0 < size0
v_cmp_lt_u32 s[60:61], v1, s[sgprSizeJ]            // coord1 < size1
s_and_b64 s[60:61], s[56:57], s[60:61]             // in0 && in1
_v_add_lshl_u32 v57, v3, v4, 0x3                   // scaleToBpe: accumulate d0 lower and *= bpe into Cin addr
v_cndmask_b32 v57, -1, v57, s[60:61]               // LDD clip if OOB. offset
/* (d1,vc1,d0,vc0)=(7,0,4,0) */
s_mov_b32 s56, 512                                 // coordOffset0 d0=4 vc0=0
_v_add_co_u32 v4, vcc, v0, s56                     // coord0.2: coord0 += d0*sg0*VW + vc0
v_cmp_lt_u32 s[56:57], v4, s[sgprSizeI]            // coord0 < size0
v_cmp_lt_u32 s[60:61], v1, s[sgprSizeJ]            // coord1 < size1
s_and_b64 s[60:61], s[56:57], s[60:61]             // in0 && in1
_v_add_lshl_u32 v58, v3, v4, 0x3                   // scaleToBpe: accumulate d0 lower and *= bpe into Cin addr
v_cndmask_b32 v58, -1, v58, s[60:61]               // LDD clip if OOB. offset
/* (d1,vc1,d0,vc0)=(7,0,5,0) */
s_mov_b32 s56, 640                                 // coordOffset0 d0=5 vc0=0
_v_add_co_u32 v4, vcc, v0, s56                     // coord0.2: coord0 += d0*sg0*VW + vc0
v_cmp_lt_u32 s[56:57], v4, s[sgprSizeI]            // coord0 < size0
v_cmp_lt_u32 s[60:61], v1, s[sgprSizeJ]            // coord1 < size1
s_and_b64 s[60:61], s[56:57], s[60:61]             // in0 && in1
_v_add_lshl_u32 v59, v3, v4, 0x3                   // scaleToBpe: accumulate d0 lower and *= bpe into Cin addr
v_cndmask_b32 v59, -1, v59, s[60:61]               // LDD clip if OOB. offset
/* (d1,vc1,d0,vc0)=(7,0,6,0) */
s_mov_b32 s56, 768                                 // coordOffset0 d0=6 vc0=0
_v_add_co_u32 v4, vcc, v0, s56                     // coord0.2: coord0 += d0*sg0*VW + vc0
v_cmp_lt_u32 s[56:57], v4, s[sgprSizeI]            // coord0 < size0
v_cmp_lt_u32 s[60:61], v1, s[sgprSizeJ]            // coord1 < size1
s_and_b64 s[60:61], s[56:57], s[60:61]             // in0 && in1
_v_add_lshl_u32 v76, v3, v4, 0x3                   // scaleToBpe: accumulate d0 lower and *= bpe into Cin addr
v_cndmask_b32 v76, -1, v76, s[60:61]               // LDD clip if OOB. offset
/* (d1,vc1,d0,vc0)=(7,0,7,0) */
s_mov_b32 s56, 896                                 // coordOffset0 d0=7 vc0=0
_v_add_co_u32 v4, vcc, v0, s56                     // coord0.2: coord0 += d0*sg0*VW + vc0
v_cmp_lt_u32 s[56:57], v4, s[sgprSizeI]            // coord0 < size0
v_cmp_lt_u32 s[60:61], v1, s[sgprSizeJ]            // coord1 < size1
s_and_b64 s[60:61], s[56:57], s[60:61]             // in0 && in1
_v_add_lshl_u32 v77, v3, v4, 0x3                   // scaleToBpe: accumulate d0 lower and *= bpe into Cin addr
v_cndmask_b32 v77, -1, v77, s[60:61]               // LDD clip if OOB. offset
v_accvgpr_read_b32 v[vgprValuC+8], acc132 // copy acc to vreg[192]
v_accvgpr_read_b32 v[vgprValuC+9], acc133 // copy acc to vreg[193]
v_accvgpr_read_b32 v[vgprValuC+10], acc140 // copy acc to vreg[194]
v_accvgpr_read_b32 v[vgprValuC+11], acc141 // copy acc to vreg[195]
v_accvgpr_read_b32 v[vgprValuC+12], acc148 // copy acc to vreg[196]
v_accvgpr_read_b32 v[vgprValuC+13], acc149 // copy acc to vreg[197]
v_accvgpr_read_b32 v[vgprValuC+14], acc156 // copy acc to vreg[198]
v_accvgpr_read_b32 v[vgprValuC+15], acc157 // copy acc to vreg[199]
v_accvgpr_read_b32 v[vgprValuC+20], acc164 // copy acc to vreg[200]
v_accvgpr_read_b32 v[vgprValuC+21], acc165 // copy acc to vreg[201]
v_accvgpr_read_b32 v[vgprValuC+22], acc172 // copy acc to vreg[202]
v_accvgpr_read_b32 v[vgprValuC+23], acc173 // copy acc to vreg[203]
v_accvgpr_read_b32 v[vgprValuC+24], acc180 // copy acc to vreg[204]
v_accvgpr_read_b32 v[vgprValuC+25], acc181 // copy acc to vreg[205]
v_accvgpr_read_b32 v[vgprValuC+26], acc188 // copy acc to vreg[206]
v_accvgpr_read_b32 v[vgprValuC+27], acc189 // copy acc to vreg[207]
v_accvgpr_read_b32 v[vgprValuC+28], acc196 // copy acc to vreg[208]
v_accvgpr_read_b32 v[vgprValuC+29], acc197 // copy acc to vreg[209]
v_accvgpr_read_b32 v[vgprValuC+30], acc204 // copy acc to vreg[210]
v_accvgpr_read_b32 v[vgprValuC+31], acc205 // copy acc to vreg[211]
v_accvgpr_read_b32 v[vgprValuC+32], acc212 // copy acc to vreg[212]
v_accvgpr_read_b32 v[vgprValuC+33], acc213 // copy acc to vreg[213]
v_accvgpr_read_b32 v[vgprValuC+34], acc220 // copy acc to vreg[214]
v_accvgpr_read_b32 v[vgprValuC+35], acc221 // copy acc to vreg[215]
v_accvgpr_read_b32 v[vgprValuC+40], acc228 // copy acc to vreg[216]
v_accvgpr_read_b32 v[vgprValuC+41], acc229 // copy acc to vreg[217]
v_accvgpr_read_b32 v[vgprValuC+42], acc236 // copy acc to vreg[218]
v_accvgpr_read_b32 v[vgprValuC+43], acc237 // copy acc to vreg[219]
v_accvgpr_read_b32 v[vgprValuC+44], acc244 // copy acc to vreg[220]
v_accvgpr_read_b32 v[vgprValuC+45], acc245 // copy acc to vreg[221]
v_accvgpr_read_b32 v[vgprValuC+46], acc252 // copy acc to vreg[222]
v_accvgpr_read_b32 v[vgprValuC+47], acc253 // copy acc to vreg[223]
v_accvgpr_read_b32 v[vgprValuC+48], acc134 // copy acc to vreg[224]
v_accvgpr_read_b32 v[vgprValuC+49], acc135 // copy acc to vreg[225]
v_accvgpr_read_b32 v[vgprValuC+50], acc142 // copy acc to vreg[226]
v_accvgpr_read_b32 v[vgprValuC+51], acc143 // copy acc to vreg[227]
v_accvgpr_read_b32 v[vgprValuC+52], acc150 // copy acc to vreg[228]
v_accvgpr_read_b32 v[vgprValuC+53], acc151 // copy acc to vreg[229]
v_accvgpr_read_b32 v[vgprValuC+54], acc158 // copy acc to vreg[230]
v_accvgpr_read_b32 v[vgprValuC+55], acc159 // copy acc to vreg[231]
v_accvgpr_read_b32 v[vgprValuC+60], acc166 // copy acc to vreg[232]
v_accvgpr_read_b32 v[vgprValuC+61], acc167 // copy acc to vreg[233]
v_accvgpr_read_b32 v[vgprValuC+62], acc174 // copy acc to vreg[234]
v_accvgpr_read_b32 v[vgprValuC+63], acc175 // copy acc to vreg[235]
v_accvgpr_read_b32 v[vgprValuC+64], acc182 // copy acc to vreg[236]
v_accvgpr_read_b32 v[vgprValuC+65], acc183 // copy acc to vreg[237]
v_accvgpr_read_b32 v[vgprValuC+66], acc190 // copy acc to vreg[238]
v_accvgpr_read_b32 v[vgprValuC+67], acc191 // copy acc to vreg[239]
v_accvgpr_read_b32 v[vgprValuC+68], acc198 // copy acc to vreg[240]
v_accvgpr_read_b32 v[vgprValuC+69], acc199 // copy acc to vreg[241]
v_accvgpr_read_b32 v[vgprValuC+70], acc206 // copy acc to vreg[242]
v_accvgpr_read_b32 v[vgprValuC+71], acc207 // copy acc to vreg[243]
v_accvgpr_read_b32 v[vgprValuC+72], acc214 // copy acc to vreg[244]
v_accvgpr_read_b32 v[vgprValuC+73], acc215 // copy acc to vreg[245]
v_accvgpr_read_b32 v[vgprValuC+74], acc222 // copy acc to vreg[246]
v_accvgpr_read_b32 v[vgprValuC+75], acc223 // copy acc to vreg[247]
v_accvgpr_read_b32 v[vgprValuC+80], acc230 // copy acc to vreg[248]
v_accvgpr_read_b32 v[vgprValuC+81], acc231 // copy acc to vreg[249]
v_accvgpr_read_b32 v[vgprValuC+82], acc238 // copy acc to vreg[250]
v_accvgpr_read_b32 v[vgprValuC+83], acc239 // copy acc to vreg[251]
v_accvgpr_read_b32 v[vgprValuC+84], acc246 // copy acc to vreg[252]
v_accvgpr_read_b32 v[vgprValuC+85], acc247 // copy acc to vreg[253]
v_accvgpr_read_b32 v[vgprValuC+86], acc254 // copy acc to vreg[254]
v_accvgpr_read_b32 v[vgprValuC+87], acc255 // copy acc to vreg[255]
s_nop 1                                            // 2 wait states required before reading vgpr

/* rC *= alpha batchElements=[(6, 0, 0, 0), (6, 1, 0, 0), (6, 2, 0, 0), (6, 3, 0, 0), (6, 4, 0, 0), (6, 5, 0, 0), (6, 6, 0, 0), (6, 7, 0, 0), (7, 0, 0, 0), (7, 1, 0, 0), (7, 2, 0, 0), (7, 3, 0, 0), (7, 4, 0, 0), (7, 5, 0, 0), (7, 6, 0, 0), (7, 7, 0, 0)] */
v_mul_f64 v[vgprValuC+8:vgprValuC+8+1], s[sgprAlpha:sgprAlpha+1], v[vgprValuC+8:vgprValuC+8+1] // *= alpha
v_mul_f64 v[vgprValuC+10:vgprValuC+10+1], s[sgprAlpha:sgprAlpha+1], v[vgprValuC+10:vgprValuC+10+1] // *= alpha
	;; [unrolled: 1-line block ×32, first 2 shown]

/* apply mask, calc new C and issue writes */
_buffer_store_b128 v[8:11], v6, s[sgprSrdD:sgprSrdD+3], 0, offen, offset:0 // store D
_buffer_store_b128 v[12:15], v7, s[sgprSrdD:sgprSrdD+3], 0, offen, offset:0 // store D
_buffer_store_b128 v[20:23], v16, s[sgprSrdD:sgprSrdD+3], 0, offen, offset:0 // store D
_buffer_store_b128 v[24:27], v17, s[sgprSrdD:sgprSrdD+3], 0, offen, offset:0 // store D
_buffer_store_b128 v[28:31], v18, s[sgprSrdD:sgprSrdD+3], 0, offen, offset:0 // store D
_buffer_store_b128 v[32:35], v19, s[sgprSrdD:sgprSrdD+3], 0, offen, offset:0 // store D
_buffer_store_b128 v[40:43], v36, s[sgprSrdD:sgprSrdD+3], 0, offen, offset:0 // store D
_buffer_store_b128 v[44:47], v37, s[sgprSrdD:sgprSrdD+3], 0, offen, offset:0 // store D
_buffer_store_b128 v[48:51], v38, s[sgprSrdD:sgprSrdD+3], 0, offen, offset:0 // store D
_buffer_store_b128 v[52:55], v39, s[sgprSrdD:sgprSrdD+3], 0, offen, offset:0 // store D
_buffer_store_b128 v[60:63], v56, s[sgprSrdD:sgprSrdD+3], 0, offen, offset:0 // store D
_buffer_store_b128 v[64:67], v57, s[sgprSrdD:sgprSrdD+3], 0, offen, offset:0 // store D
_buffer_store_b128 v[68:71], v58, s[sgprSrdD:sgprSrdD+3], 0, offen, offset:0 // store D
_buffer_store_b128 v[72:75], v59, s[sgprSrdD:sgprSrdD+3], 0, offen, offset:0 // store D
_buffer_store_b128 v[80:83], v76, s[sgprSrdD:sgprSrdD+3], 0, offen, offset:0 // store D
_buffer_store_b128 v[84:87], v77, s[sgprSrdD:sgprSrdD+3], 0, offen, offset:0 // store D
s_nop 0                                            // 1 wait state required when next inst writes vgprs held by previous dwordx4 store inst
s_branch label_GW_End_46                           // jump to end
GW_Beta_47:
s_and_b32 s56, 1023, s[sgprSizeI]                  // s56 = s[sgprSizeI] % 1024
s_add_u32 s57, -0x1, s[sgprNumWorkGroups0]         // 
s_cmp_ge_u32 s[sgprWorkGroup0], s57                // wg0 >= nwg0-1 ?
s_cselect_b32 s56, s56, 0                          // set rMT0
s_cmpk_gt_u32 s56, 0x0                             // rMT0 > 0
s_cbranch_scc1 GW_B1_E1_45                         // jump if edges required
s_and_b32 s56, 31, s[sgprSizeJ]                    // s56 = s[sgprSizeJ] % 32
s_add_u32 s57, -0x1, s[sgprNumWorkGroups1]         // 
s_cmp_ge_u32 s[sgprWorkGroup1], s57                // wg1 >= nwg1-1
s_cselect_b32 s56, s56, 0                          // set rMT1
s_cmpk_gt_u32 s56, 0x0                             // rMT1 > 0
s_cbranch_scc1 GW_B1_E1_45                         // jump if edges required
GW_B1_E0_42:

/* edge=0, allocate 2 sgpr. perBatchTmpS=2 perBatchMaskS=0 perElementMaskS=0 elementsPerBatch=30 */
/* optSingleColVgpr=1 optSharedColVgpr=0 optSGPRUsage=BufferLoad_Mask optSrdIncForRow=1 */

/******************************************/
/* Global Write Alpha Beta Batch #0 (d1,d0,vc1,vc0) = */
/*    (0,0,0,0:vw2); (0,1,0,0:vw2); (0,2,0,0:vw2); (0,3,0,0:vw2); (0,4,0,0:vw2); (0,5,0,0:vw2); (0,6,0,0:vw2); (0,7,0,0:vw2); (1,0,0,0:vw2); (1,1,0,0:vw2); (1,2,0,0:vw2); (1,3,0,0:vw2); (1,4,0,0:vw2); (1,5,0,0:vw2); (1,6,0,0:vw2); (1,7,0,0:vw2); (2,0,0,0:vw2); (2,1,0,0:vw2); (2,2,0,0:vw2); (2,3,0,0:vw2); (2,4,0,0:vw2); (2,5,0,0:vw2); (2,6,0,0:vw2); (2,7,0,0:vw2); (3,0,0,0:vw2); (3,1,0,0:vw2); (3,2,0,0:vw2); (3,3,0,0:vw2); (3,4,0,0:vw2); (3,5,0,0:vw2) */
/******************************************/

/* calc coords, apply mask, and issue loads (if necessary) */
/* (d1,vc1,d0,vc0)=(0,0,0,0) */
_v_add_lshl_u32 v7, v2, v0, 0x3                    // optSingleColVgpr scaleToBpe: sharedAddrVgpr <- cinRowPtr + coord0, scaled by BPE. BSHERE:coord0=0, coord0Vgpr=0
_buffer_load_b128 v[8:11], v7, s[sgprSrdC:sgprSrdC+3], 0, offen offset:0 // load C for beta calc
/* (d1,vc1,d0,vc0)=(0,0,1,0) */
_buffer_load_b128 v[16:19], v7, s[sgprSrdC:sgprSrdC+3], 0, offen offset:1024 // load C for beta calc
/* (d1,vc1,d0,vc0)=(0,0,2,0) */
_buffer_load_b128 v[24:27], v7, s[sgprSrdC:sgprSrdC+3], 0, offen offset:2048 // load C for beta calc
/* (d1,vc1,d0,vc0)=(0,0,3,0) */
_buffer_load_b128 v[32:35], v7, s[sgprSrdC:sgprSrdC+3], 0, offen offset:3072 // load C for beta calc
/* (d1,vc1,d0,vc0)=(0,0,4,0) */
s_mov_b32 s55, 4096                                // large offset
_buffer_load_b128 v[40:43], v7, s[sgprSrdC:sgprSrdC+3], s55, offen offset:0 // load C for beta calc
/* (d1,vc1,d0,vc0)=(0,0,5,0) */
s_mov_b32 s55, 5120                                // large offset
_buffer_load_b128 v[48:51], v7, s[sgprSrdC:sgprSrdC+3], s55, offen offset:0 // load C for beta calc
/* (d1,vc1,d0,vc0)=(0,0,6,0) */
s_mov_b32 s55, 6144                                // large offset
_buffer_load_b128 v[56:59], v7, s[sgprSrdC:sgprSrdC+3], s55, offen offset:0 // load C for beta calc
/* (d1,vc1,d0,vc0)=(0,0,7,0) */
s_mov_b32 s55, 7168                                // large offset
_buffer_load_b128 v[64:67], v7, s[sgprSrdC:sgprSrdC+3], s55, offen offset:0 // load C for beta calc
/* (d1,vc1,d0,vc0)=(1,0,0,0) */
s_mul_i32 s56, s[sgprStrideC1J], 32                // scale StrideC *= numRows(4) * bpe
s_add_u32  s[sgprSrdC+0], s[sgprSrdC+0], s56       // incToNextRow: gra SRD += inc(lower)
s_addc_u32  s[sgprSrdC+1], s[sgprSrdC+1], 0        // incToNextRow: gra SRD += inc(upper)
_buffer_load_b128 v[72:75], v7, s[sgprSrdC:sgprSrdC+3], 0, offen offset:0 // load C for beta calc
/* (d1,vc1,d0,vc0)=(1,0,1,0) */
_buffer_load_b128 v[80:83], v7, s[sgprSrdC:sgprSrdC+3], 0, offen offset:1024 // load C for beta calc
/* (d1,vc1,d0,vc0)=(1,0,2,0) */
_buffer_load_b128 v[88:91], v7, s[sgprSrdC:sgprSrdC+3], 0, offen offset:2048 // load C for beta calc
/* (d1,vc1,d0,vc0)=(1,0,3,0) */
_buffer_load_b128 v[96:99], v7, s[sgprSrdC:sgprSrdC+3], 0, offen offset:3072 // load C for beta calc
/* (d1,vc1,d0,vc0)=(1,0,4,0) */
s_mov_b32 s55, 4096                                // large offset
_buffer_load_b128 v[104:107], v7, s[sgprSrdC:sgprSrdC+3], s55, offen offset:0 // load C for beta calc
/* (d1,vc1,d0,vc0)=(1,0,5,0) */
s_mov_b32 s55, 5120                                // large offset
_buffer_load_b128 v[112:115], v7, s[sgprSrdC:sgprSrdC+3], s55, offen offset:0 // load C for beta calc
/* (d1,vc1,d0,vc0)=(1,0,6,0) */
s_mov_b32 s55, 6144                                // large offset
_buffer_load_b128 v[120:123], v7, s[sgprSrdC:sgprSrdC+3], s55, offen offset:0 // load C for beta calc
/* (d1,vc1,d0,vc0)=(1,0,7,0) */
s_mov_b32 s55, 7168                                // large offset
_buffer_load_b128 v[128:131], v7, s[sgprSrdC:sgprSrdC+3], s55, offen offset:0 // load C for beta calc
/* (d1,vc1,d0,vc0)=(2,0,0,0) */
s_mul_i32 s56, s[sgprStrideC1J], 32                // scale StrideC *= numRows(4) * bpe
s_add_u32  s[sgprSrdC+0], s[sgprSrdC+0], s56       // incToNextRow: gra SRD += inc(lower)
s_addc_u32  s[sgprSrdC+1], s[sgprSrdC+1], 0        // incToNextRow: gra SRD += inc(upper)
	;; [unrolled: 23-line block ×3, first 2 shown]
_buffer_load_b128 v[204:207], v7, s[sgprSrdC:sgprSrdC+3], 0, offen offset:0 // load C for beta calc
/* (d1,vc1,d0,vc0)=(3,0,1,0) */
_buffer_load_b128 v[212:215], v7, s[sgprSrdC:sgprSrdC+3], 0, offen offset:1024 // load C for beta calc
/* (d1,vc1,d0,vc0)=(3,0,2,0) */
	;; [unrolled: 2-line block ×4, first 2 shown]
s_mov_b32 s55, 4096                                // large offset
_buffer_load_b128 v[236:239], v7, s[sgprSrdC:sgprSrdC+3], s55, offen offset:0 // load C for beta calc
/* (d1,vc1,d0,vc0)=(3,0,5,0) */
s_mov_b32 s55, 5120                                // large offset
_buffer_load_b128 v[244:247], v7, s[sgprSrdC:sgprSrdC+3], s55, offen offset:0 // load C for beta calc
_v_add_lshl_u32 v6, v3, v0, 0x3                    // optSingleColVgpr scaleToBpe: sharedAddrVgpr <- cinRowPtr + coord0, scaled by BPE. BSHERE:coord0=0, coord0Vgpr=0
v_accvgpr_read_b32 v[vgprValuC+12], acc0 // copy acc to vreg[0]
v_accvgpr_read_b32 v[vgprValuC+13], acc1 // copy acc to vreg[1]
v_accvgpr_read_b32 v[vgprValuC+14], acc8 // copy acc to vreg[2]
v_accvgpr_read_b32 v[vgprValuC+15], acc9 // copy acc to vreg[3]
v_accvgpr_read_b32 v[vgprValuC+20], acc16 // copy acc to vreg[4]
v_accvgpr_read_b32 v[vgprValuC+21], acc17 // copy acc to vreg[5]
v_accvgpr_read_b32 v[vgprValuC+22], acc24 // copy acc to vreg[6]
v_accvgpr_read_b32 v[vgprValuC+23], acc25 // copy acc to vreg[7]
v_accvgpr_read_b32 v[vgprValuC+28], acc32 // copy acc to vreg[8]
v_accvgpr_read_b32 v[vgprValuC+29], acc33 // copy acc to vreg[9]
v_accvgpr_read_b32 v[vgprValuC+30], acc40 // copy acc to vreg[10]
v_accvgpr_read_b32 v[vgprValuC+31], acc41 // copy acc to vreg[11]
v_accvgpr_read_b32 v[vgprValuC+36], acc48 // copy acc to vreg[12]
v_accvgpr_read_b32 v[vgprValuC+37], acc49 // copy acc to vreg[13]
v_accvgpr_read_b32 v[vgprValuC+38], acc56 // copy acc to vreg[14]
v_accvgpr_read_b32 v[vgprValuC+39], acc57 // copy acc to vreg[15]
v_accvgpr_read_b32 v[vgprValuC+44], acc64 // copy acc to vreg[16]
v_accvgpr_read_b32 v[vgprValuC+45], acc65 // copy acc to vreg[17]
v_accvgpr_read_b32 v[vgprValuC+46], acc72 // copy acc to vreg[18]
v_accvgpr_read_b32 v[vgprValuC+47], acc73 // copy acc to vreg[19]
v_accvgpr_read_b32 v[vgprValuC+52], acc80 // copy acc to vreg[20]
v_accvgpr_read_b32 v[vgprValuC+53], acc81 // copy acc to vreg[21]
v_accvgpr_read_b32 v[vgprValuC+54], acc88 // copy acc to vreg[22]
v_accvgpr_read_b32 v[vgprValuC+55], acc89 // copy acc to vreg[23]
v_accvgpr_read_b32 v[vgprValuC+60], acc96 // copy acc to vreg[24]
v_accvgpr_read_b32 v[vgprValuC+61], acc97 // copy acc to vreg[25]
v_accvgpr_read_b32 v[vgprValuC+62], acc104 // copy acc to vreg[26]
v_accvgpr_read_b32 v[vgprValuC+63], acc105 // copy acc to vreg[27]
v_accvgpr_read_b32 v[vgprValuC+68], acc112 // copy acc to vreg[28]
v_accvgpr_read_b32 v[vgprValuC+69], acc113 // copy acc to vreg[29]
v_accvgpr_read_b32 v[vgprValuC+70], acc120 // copy acc to vreg[30]
v_accvgpr_read_b32 v[vgprValuC+71], acc121 // copy acc to vreg[31]
v_accvgpr_read_b32 v[vgprValuC+76], acc2 // copy acc to vreg[32]
v_accvgpr_read_b32 v[vgprValuC+77], acc3 // copy acc to vreg[33]
v_accvgpr_read_b32 v[vgprValuC+78], acc10 // copy acc to vreg[34]
v_accvgpr_read_b32 v[vgprValuC+79], acc11 // copy acc to vreg[35]
v_accvgpr_read_b32 v[vgprValuC+84], acc18 // copy acc to vreg[36]
v_accvgpr_read_b32 v[vgprValuC+85], acc19 // copy acc to vreg[37]
v_accvgpr_read_b32 v[vgprValuC+86], acc26 // copy acc to vreg[38]
v_accvgpr_read_b32 v[vgprValuC+87], acc27 // copy acc to vreg[39]
v_accvgpr_read_b32 v[vgprValuC+92], acc34 // copy acc to vreg[40]
v_accvgpr_read_b32 v[vgprValuC+93], acc35 // copy acc to vreg[41]
v_accvgpr_read_b32 v[vgprValuC+94], acc42 // copy acc to vreg[42]
v_accvgpr_read_b32 v[vgprValuC+95], acc43 // copy acc to vreg[43]
v_accvgpr_read_b32 v[vgprValuC+100], acc50 // copy acc to vreg[44]
v_accvgpr_read_b32 v[vgprValuC+101], acc51 // copy acc to vreg[45]
v_accvgpr_read_b32 v[vgprValuC+102], acc58 // copy acc to vreg[46]
v_accvgpr_read_b32 v[vgprValuC+103], acc59 // copy acc to vreg[47]
v_accvgpr_read_b32 v[vgprValuC+108], acc66 // copy acc to vreg[48]
v_accvgpr_read_b32 v[vgprValuC+109], acc67 // copy acc to vreg[49]
v_accvgpr_read_b32 v[vgprValuC+110], acc74 // copy acc to vreg[50]
v_accvgpr_read_b32 v[vgprValuC+111], acc75 // copy acc to vreg[51]
v_accvgpr_read_b32 v[vgprValuC+116], acc82 // copy acc to vreg[52]
v_accvgpr_read_b32 v[vgprValuC+117], acc83 // copy acc to vreg[53]
v_accvgpr_read_b32 v[vgprValuC+118], acc90 // copy acc to vreg[54]
v_accvgpr_read_b32 v[vgprValuC+119], acc91 // copy acc to vreg[55]
v_accvgpr_read_b32 v[vgprValuC+124], acc98 // copy acc to vreg[56]
v_accvgpr_read_b32 v[vgprValuC+125], acc99 // copy acc to vreg[57]
v_accvgpr_read_b32 v[vgprValuC+126], acc106 // copy acc to vreg[58]
v_accvgpr_read_b32 v[vgprValuC+127], acc107 // copy acc to vreg[59]
v_accvgpr_read_b32 v[vgprValuC+132], acc114 // copy acc to vreg[60]
v_accvgpr_read_b32 v[vgprValuC+133], acc115 // copy acc to vreg[61]
v_accvgpr_read_b32 v[vgprValuC+134], acc122 // copy acc to vreg[62]
v_accvgpr_read_b32 v[vgprValuC+135], acc123 // copy acc to vreg[63]
v_accvgpr_read_b32 v[vgprValuC+140], acc4 // copy acc to vreg[64]
v_accvgpr_read_b32 v[vgprValuC+141], acc5 // copy acc to vreg[65]
v_accvgpr_read_b32 v[vgprValuC+142], acc12 // copy acc to vreg[66]
v_accvgpr_read_b32 v[vgprValuC+143], acc13 // copy acc to vreg[67]
v_accvgpr_read_b32 v[vgprValuC+148], acc20 // copy acc to vreg[68]
v_accvgpr_read_b32 v[vgprValuC+149], acc21 // copy acc to vreg[69]
v_accvgpr_read_b32 v[vgprValuC+150], acc28 // copy acc to vreg[70]
v_accvgpr_read_b32 v[vgprValuC+151], acc29 // copy acc to vreg[71]
v_accvgpr_read_b32 v[vgprValuC+160], acc36 // copy acc to vreg[72]
v_accvgpr_read_b32 v[vgprValuC+161], acc37 // copy acc to vreg[73]
v_accvgpr_read_b32 v[vgprValuC+162], acc44 // copy acc to vreg[74]
v_accvgpr_read_b32 v[vgprValuC+163], acc45 // copy acc to vreg[75]
v_accvgpr_read_b32 v[vgprValuC+168], acc52 // copy acc to vreg[76]
v_accvgpr_read_b32 v[vgprValuC+169], acc53 // copy acc to vreg[77]
v_accvgpr_read_b32 v[vgprValuC+170], acc60 // copy acc to vreg[78]
v_accvgpr_read_b32 v[vgprValuC+171], acc61 // copy acc to vreg[79]
v_accvgpr_read_b32 v[vgprValuC+176], acc68 // copy acc to vreg[80]
v_accvgpr_read_b32 v[vgprValuC+177], acc69 // copy acc to vreg[81]
v_accvgpr_read_b32 v[vgprValuC+178], acc76 // copy acc to vreg[82]
v_accvgpr_read_b32 v[vgprValuC+179], acc77 // copy acc to vreg[83]
v_accvgpr_read_b32 v[vgprValuC+184], acc84 // copy acc to vreg[84]
v_accvgpr_read_b32 v[vgprValuC+185], acc85 // copy acc to vreg[85]
v_accvgpr_read_b32 v[vgprValuC+186], acc92 // copy acc to vreg[86]
v_accvgpr_read_b32 v[vgprValuC+187], acc93 // copy acc to vreg[87]
v_accvgpr_read_b32 v[vgprValuC+192], acc100 // copy acc to vreg[88]
v_accvgpr_read_b32 v[vgprValuC+193], acc101 // copy acc to vreg[89]
v_accvgpr_read_b32 v[vgprValuC+194], acc108 // copy acc to vreg[90]
v_accvgpr_read_b32 v[vgprValuC+195], acc109 // copy acc to vreg[91]
v_accvgpr_read_b32 v[vgprValuC+200], acc116 // copy acc to vreg[92]
v_accvgpr_read_b32 v[vgprValuC+201], acc117 // copy acc to vreg[93]
v_accvgpr_read_b32 v[vgprValuC+202], acc124 // copy acc to vreg[94]
v_accvgpr_read_b32 v[vgprValuC+203], acc125 // copy acc to vreg[95]
v_accvgpr_read_b32 v[vgprValuC+208], acc6 // copy acc to vreg[96]
v_accvgpr_read_b32 v[vgprValuC+209], acc7 // copy acc to vreg[97]
v_accvgpr_read_b32 v[vgprValuC+210], acc14 // copy acc to vreg[98]
v_accvgpr_read_b32 v[vgprValuC+211], acc15 // copy acc to vreg[99]
v_accvgpr_read_b32 v[vgprValuC+216], acc22 // copy acc to vreg[100]
v_accvgpr_read_b32 v[vgprValuC+217], acc23 // copy acc to vreg[101]
v_accvgpr_read_b32 v[vgprValuC+218], acc30 // copy acc to vreg[102]
v_accvgpr_read_b32 v[vgprValuC+219], acc31 // copy acc to vreg[103]
v_accvgpr_read_b32 v[vgprValuC+224], acc38 // copy acc to vreg[104]
v_accvgpr_read_b32 v[vgprValuC+225], acc39 // copy acc to vreg[105]
v_accvgpr_read_b32 v[vgprValuC+226], acc46 // copy acc to vreg[106]
v_accvgpr_read_b32 v[vgprValuC+227], acc47 // copy acc to vreg[107]
v_accvgpr_read_b32 v[vgprValuC+232], acc54 // copy acc to vreg[108]
v_accvgpr_read_b32 v[vgprValuC+233], acc55 // copy acc to vreg[109]
v_accvgpr_read_b32 v[vgprValuC+234], acc62 // copy acc to vreg[110]
v_accvgpr_read_b32 v[vgprValuC+235], acc63 // copy acc to vreg[111]
v_accvgpr_read_b32 v[vgprValuC+240], acc70 // copy acc to vreg[112]
v_accvgpr_read_b32 v[vgprValuC+241], acc71 // copy acc to vreg[113]
v_accvgpr_read_b32 v[vgprValuC+242], acc78 // copy acc to vreg[114]
v_accvgpr_read_b32 v[vgprValuC+243], acc79 // copy acc to vreg[115]
v_accvgpr_read_b32 v[vgprValuC+248], acc86 // copy acc to vreg[116]
v_accvgpr_read_b32 v[vgprValuC+249], acc87 // copy acc to vreg[117]
v_accvgpr_read_b32 v[vgprValuC+250], acc94 // copy acc to vreg[118]
v_accvgpr_read_b32 v[vgprValuC+251], acc95 // copy acc to vreg[119]
s_nop 1                                            // 2 wait states required before reading vgpr

/* rC *= alpha batchElements=[(0, 0, 0, 0), (0, 1, 0, 0), (0, 2, 0, 0), (0, 3, 0, 0), (0, 4, 0, 0), (0, 5, 0, 0), (0, 6, 0, 0), (0, 7, 0, 0), (1, 0, 0, 0), (1, 1, 0, 0), (1, 2, 0, 0), (1, 3, 0, 0), (1, 4, 0, 0), (1, 5, 0, 0), (1, 6, 0, 0), (1, 7, 0, 0), (2, 0, 0, 0), (2, 1, 0, 0), (2, 2, 0, 0), (2, 3, 0, 0), (2, 4, 0, 0), (2, 5, 0, 0), (2, 6, 0, 0), (2, 7, 0, 0), (3, 0, 0, 0), (3, 1, 0, 0), (3, 2, 0, 0), (3, 3, 0, 0), (3, 4, 0, 0), (3, 5, 0, 0)] */
v_mul_f64 v[vgprValuC+12:vgprValuC+12+1], s[sgprAlpha:sgprAlpha+1], v[vgprValuC+12:vgprValuC+12+1] // *= alpha
v_mul_f64 v[vgprValuC+14:vgprValuC+14+1], s[sgprAlpha:sgprAlpha+1], v[vgprValuC+14:vgprValuC+14+1] // *= alpha
	;; [unrolled: 1-line block ×60, first 2 shown]

/* apply mask, calc new C and issue writes */

s_waitcnt vmcnt(29)                                // wait C (interleaved) 29 = 30 - 0 + 0 - 1
v_fma_f64 v[vgprValuC+12:vgprValuC+12+1], v[8:9], s[sgprBeta:sgprBeta+1], v[vgprValuC+12:vgprValuC+12+1] // finalSum = sum*alpha + C*beta
v_fma_f64 v[vgprValuC+14:vgprValuC+14+1], v[10:11], s[sgprBeta:sgprBeta+1], v[vgprValuC+14:vgprValuC+14+1] // finalSum = sum*alpha + C*beta
_buffer_store_b128 v[12:15], v6, s[sgprSrdD:sgprSrdD+3], 0, offen, offset:0 // store D

s_waitcnt vmcnt(29)                                // wait C (interleaved) 29 = 30 - 1 + 1 - 1
v_fma_f64 v[vgprValuC+20:vgprValuC+20+1], v[16:17], s[sgprBeta:sgprBeta+1], v[vgprValuC+20:vgprValuC+20+1] // finalSum = sum*alpha + C*beta
v_fma_f64 v[vgprValuC+22:vgprValuC+22+1], v[18:19], s[sgprBeta:sgprBeta+1], v[vgprValuC+22:vgprValuC+22+1] // finalSum = sum*alpha + C*beta
_buffer_store_b128 v[20:23], v6, s[sgprSrdD:sgprSrdD+3], 0, offen, offset:1024 // store D

s_waitcnt vmcnt(29)                                // wait C (interleaved) 29 = 30 - 2 + 2 - 1
v_fma_f64 v[vgprValuC+28:vgprValuC+28+1], v[24:25], s[sgprBeta:sgprBeta+1], v[vgprValuC+28:vgprValuC+28+1] // finalSum = sum*alpha + C*beta
v_fma_f64 v[vgprValuC+30:vgprValuC+30+1], v[26:27], s[sgprBeta:sgprBeta+1], v[vgprValuC+30:vgprValuC+30+1] // finalSum = sum*alpha + C*beta
_buffer_store_b128 v[28:31], v6, s[sgprSrdD:sgprSrdD+3], 0, offen, offset:2048 // store D

s_waitcnt vmcnt(29)                                // wait C (interleaved) 29 = 30 - 3 + 3 - 1
v_fma_f64 v[vgprValuC+36:vgprValuC+36+1], v[32:33], s[sgprBeta:sgprBeta+1], v[vgprValuC+36:vgprValuC+36+1] // finalSum = sum*alpha + C*beta
v_fma_f64 v[vgprValuC+38:vgprValuC+38+1], v[34:35], s[sgprBeta:sgprBeta+1], v[vgprValuC+38:vgprValuC+38+1] // finalSum = sum*alpha + C*beta
_buffer_store_b128 v[36:39], v6, s[sgprSrdD:sgprSrdD+3], 0, offen, offset:3072 // store D

s_waitcnt vmcnt(29)                                // wait C (interleaved) 29 = 30 - 4 + 4 - 1
v_fma_f64 v[vgprValuC+44:vgprValuC+44+1], v[40:41], s[sgprBeta:sgprBeta+1], v[vgprValuC+44:vgprValuC+44+1] // finalSum = sum*alpha + C*beta
v_fma_f64 v[vgprValuC+46:vgprValuC+46+1], v[42:43], s[sgprBeta:sgprBeta+1], v[vgprValuC+46:vgprValuC+46+1] // finalSum = sum*alpha + C*beta
s_mov_b32 s55, 4096                                // large offset
_buffer_store_b128 v[44:47], v6, s[sgprSrdD:sgprSrdD+3], s55, offen, offset:0 // store D

s_waitcnt vmcnt(29)                                // wait C (interleaved) 29 = 30 - 5 + 5 - 1
v_fma_f64 v[vgprValuC+52:vgprValuC+52+1], v[48:49], s[sgprBeta:sgprBeta+1], v[vgprValuC+52:vgprValuC+52+1] // finalSum = sum*alpha + C*beta
v_fma_f64 v[vgprValuC+54:vgprValuC+54+1], v[50:51], s[sgprBeta:sgprBeta+1], v[vgprValuC+54:vgprValuC+54+1] // finalSum = sum*alpha + C*beta
s_mov_b32 s55, 5120                                // large offset
_buffer_store_b128 v[52:55], v6, s[sgprSrdD:sgprSrdD+3], s55, offen, offset:0 // store D

s_waitcnt vmcnt(29)                                // wait C (interleaved) 29 = 30 - 6 + 6 - 1
v_fma_f64 v[vgprValuC+60:vgprValuC+60+1], v[56:57], s[sgprBeta:sgprBeta+1], v[vgprValuC+60:vgprValuC+60+1] // finalSum = sum*alpha + C*beta
v_fma_f64 v[vgprValuC+62:vgprValuC+62+1], v[58:59], s[sgprBeta:sgprBeta+1], v[vgprValuC+62:vgprValuC+62+1] // finalSum = sum*alpha + C*beta
s_mov_b32 s55, 6144                                // large offset
_buffer_store_b128 v[60:63], v6, s[sgprSrdD:sgprSrdD+3], s55, offen, offset:0 // store D

s_waitcnt vmcnt(29)                                // wait C (interleaved) 29 = 30 - 7 + 7 - 1
v_fma_f64 v[vgprValuC+68:vgprValuC+68+1], v[64:65], s[sgprBeta:sgprBeta+1], v[vgprValuC+68:vgprValuC+68+1] // finalSum = sum*alpha + C*beta
v_fma_f64 v[vgprValuC+70:vgprValuC+70+1], v[66:67], s[sgprBeta:sgprBeta+1], v[vgprValuC+70:vgprValuC+70+1] // finalSum = sum*alpha + C*beta
s_mov_b32 s55, 7168                                // large offset
_buffer_store_b128 v[68:71], v6, s[sgprSrdD:sgprSrdD+3], s55, offen, offset:0 // store D

s_waitcnt vmcnt(29)                                // wait C (interleaved) 29 = 30 - 8 + 8 - 1
v_fma_f64 v[vgprValuC+76:vgprValuC+76+1], v[72:73], s[sgprBeta:sgprBeta+1], v[vgprValuC+76:vgprValuC+76+1] // finalSum = sum*alpha + C*beta
v_fma_f64 v[vgprValuC+78:vgprValuC+78+1], v[74:75], s[sgprBeta:sgprBeta+1], v[vgprValuC+78:vgprValuC+78+1] // finalSum = sum*alpha + C*beta
s_mul_i32 s56, s[sgprStrideD1J], 32                // scale StrideD *= numRows(4) * bpe
s_add_u32  s[sgprSrdD+0], s[sgprSrdD+0], s56       // incToNextRow: gra SRD += inc(lower)
s_addc_u32  s[sgprSrdD+1], s[sgprSrdD+1], 0        // incToNextRow: gra SRD += inc(upper)
_buffer_store_b128 v[76:79], v6, s[sgprSrdD:sgprSrdD+3], 0, offen, offset:0 // store D

s_waitcnt vmcnt(29)                                // wait C (interleaved) 29 = 30 - 9 + 9 - 1
v_fma_f64 v[vgprValuC+84:vgprValuC+84+1], v[80:81], s[sgprBeta:sgprBeta+1], v[vgprValuC+84:vgprValuC+84+1] // finalSum = sum*alpha + C*beta
v_fma_f64 v[vgprValuC+86:vgprValuC+86+1], v[82:83], s[sgprBeta:sgprBeta+1], v[vgprValuC+86:vgprValuC+86+1] // finalSum = sum*alpha + C*beta
_buffer_store_b128 v[84:87], v6, s[sgprSrdD:sgprSrdD+3], 0, offen, offset:1024 // store D

s_waitcnt vmcnt(29)                                // wait C (interleaved) 29 = 30 - 10 + 10 - 1
v_fma_f64 v[vgprValuC+92:vgprValuC+92+1], v[88:89], s[sgprBeta:sgprBeta+1], v[vgprValuC+92:vgprValuC+92+1] // finalSum = sum*alpha + C*beta
v_fma_f64 v[vgprValuC+94:vgprValuC+94+1], v[90:91], s[sgprBeta:sgprBeta+1], v[vgprValuC+94:vgprValuC+94+1] // finalSum = sum*alpha + C*beta
_buffer_store_b128 v[92:95], v6, s[sgprSrdD:sgprSrdD+3], 0, offen, offset:2048 // store D

s_waitcnt vmcnt(29)                                // wait C (interleaved) 29 = 30 - 11 + 11 - 1
v_fma_f64 v[vgprValuC+100:vgprValuC+100+1], v[96:97], s[sgprBeta:sgprBeta+1], v[vgprValuC+100:vgprValuC+100+1] // finalSum = sum*alpha + C*beta
v_fma_f64 v[vgprValuC+102:vgprValuC+102+1], v[98:99], s[sgprBeta:sgprBeta+1], v[vgprValuC+102:vgprValuC+102+1] // finalSum = sum*alpha + C*beta
_buffer_store_b128 v[100:103], v6, s[sgprSrdD:sgprSrdD+3], 0, offen, offset:3072 // store D

s_waitcnt vmcnt(29)                                // wait C (interleaved) 29 = 30 - 12 + 12 - 1
v_fma_f64 v[vgprValuC+108:vgprValuC+108+1], v[104:105], s[sgprBeta:sgprBeta+1], v[vgprValuC+108:vgprValuC+108+1] // finalSum = sum*alpha + C*beta
v_fma_f64 v[vgprValuC+110:vgprValuC+110+1], v[106:107], s[sgprBeta:sgprBeta+1], v[vgprValuC+110:vgprValuC+110+1] // finalSum = sum*alpha + C*beta
s_mov_b32 s55, 4096                                // large offset
_buffer_store_b128 v[108:111], v6, s[sgprSrdD:sgprSrdD+3], s55, offen, offset:0 // store D

s_waitcnt vmcnt(29)                                // wait C (interleaved) 29 = 30 - 13 + 13 - 1
v_fma_f64 v[vgprValuC+116:vgprValuC+116+1], v[112:113], s[sgprBeta:sgprBeta+1], v[vgprValuC+116:vgprValuC+116+1] // finalSum = sum*alpha + C*beta
v_fma_f64 v[vgprValuC+118:vgprValuC+118+1], v[114:115], s[sgprBeta:sgprBeta+1], v[vgprValuC+118:vgprValuC+118+1] // finalSum = sum*alpha + C*beta
s_mov_b32 s55, 5120                                // large offset
_buffer_store_b128 v[116:119], v6, s[sgprSrdD:sgprSrdD+3], s55, offen, offset:0 // store D

s_waitcnt vmcnt(29)                                // wait C (interleaved) 29 = 30 - 14 + 14 - 1
v_fma_f64 v[vgprValuC+124:vgprValuC+124+1], v[120:121], s[sgprBeta:sgprBeta+1], v[vgprValuC+124:vgprValuC+124+1] // finalSum = sum*alpha + C*beta
v_fma_f64 v[vgprValuC+126:vgprValuC+126+1], v[122:123], s[sgprBeta:sgprBeta+1], v[vgprValuC+126:vgprValuC+126+1] // finalSum = sum*alpha + C*beta
s_mov_b32 s55, 6144                                // large offset
_buffer_store_b128 v[124:127], v6, s[sgprSrdD:sgprSrdD+3], s55, offen, offset:0 // store D

s_waitcnt vmcnt(29)                                // wait C (interleaved) 29 = 30 - 15 + 15 - 1
v_fma_f64 v[vgprValuC+132:vgprValuC+132+1], v[128:129], s[sgprBeta:sgprBeta+1], v[vgprValuC+132:vgprValuC+132+1] // finalSum = sum*alpha + C*beta
v_fma_f64 v[vgprValuC+134:vgprValuC+134+1], v[130:131], s[sgprBeta:sgprBeta+1], v[vgprValuC+134:vgprValuC+134+1] // finalSum = sum*alpha + C*beta
s_mov_b32 s55, 7168                                // large offset
_buffer_store_b128 v[132:135], v6, s[sgprSrdD:sgprSrdD+3], s55, offen, offset:0 // store D

s_waitcnt vmcnt(29)                                // wait C (interleaved) 29 = 30 - 16 + 16 - 1
v_fma_f64 v[vgprValuC+140:vgprValuC+140+1], v[136:137], s[sgprBeta:sgprBeta+1], v[vgprValuC+140:vgprValuC+140+1] // finalSum = sum*alpha + C*beta
v_fma_f64 v[vgprValuC+142:vgprValuC+142+1], v[138:139], s[sgprBeta:sgprBeta+1], v[vgprValuC+142:vgprValuC+142+1] // finalSum = sum*alpha + C*beta
s_mul_i32 s56, s[sgprStrideD1J], 32                // scale StrideD *= numRows(4) * bpe
s_add_u32  s[sgprSrdD+0], s[sgprSrdD+0], s56       // incToNextRow: gra SRD += inc(lower)
s_addc_u32  s[sgprSrdD+1], s[sgprSrdD+1], 0        // incToNextRow: gra SRD += inc(upper)
_buffer_store_b128 v[140:143], v6, s[sgprSrdD:sgprSrdD+3], 0, offen, offset:0 // store D

s_waitcnt vmcnt(29)                                // wait C (interleaved) 29 = 30 - 17 + 17 - 1
v_fma_f64 v[vgprValuC+148:vgprValuC+148+1], v[144:145], s[sgprBeta:sgprBeta+1], v[vgprValuC+148:vgprValuC+148+1] // finalSum = sum*alpha + C*beta
v_fma_f64 v[vgprValuC+150:vgprValuC+150+1], v[146:147], s[sgprBeta:sgprBeta+1], v[vgprValuC+150:vgprValuC+150+1] // finalSum = sum*alpha + C*beta
_buffer_store_b128 v[148:151], v6, s[sgprSrdD:sgprSrdD+3], 0, offen, offset:1024 // store D

s_waitcnt vmcnt(29)                                // wait C (interleaved) 29 = 30 - 18 + 18 - 1
v_fma_f64 v[vgprValuC+160:vgprValuC+160+1], v[152:153], s[sgprBeta:sgprBeta+1], v[vgprValuC+160:vgprValuC+160+1] // finalSum = sum*alpha + C*beta
v_fma_f64 v[vgprValuC+162:vgprValuC+162+1], v[154:155], s[sgprBeta:sgprBeta+1], v[vgprValuC+162:vgprValuC+162+1] // finalSum = sum*alpha + C*beta
_buffer_store_b128 v[160:163], v6, s[sgprSrdD:sgprSrdD+3], 0, offen, offset:2048 // store D

s_waitcnt vmcnt(29)                                // wait C (interleaved) 29 = 30 - 19 + 19 - 1
v_fma_f64 v[vgprValuC+168:vgprValuC+168+1], v[164:165], s[sgprBeta:sgprBeta+1], v[vgprValuC+168:vgprValuC+168+1] // finalSum = sum*alpha + C*beta
v_fma_f64 v[vgprValuC+170:vgprValuC+170+1], v[166:167], s[sgprBeta:sgprBeta+1], v[vgprValuC+170:vgprValuC+170+1] // finalSum = sum*alpha + C*beta
_buffer_store_b128 v[168:171], v6, s[sgprSrdD:sgprSrdD+3], 0, offen, offset:3072 // store D
	;; [unrolled: 47-line block ×3, first 2 shown]

s_waitcnt vmcnt(29)                                // wait C (interleaved) 29 = 30 - 28 + 28 - 1
v_fma_f64 v[vgprValuC+240:vgprValuC+240+1], v[236:237], s[sgprBeta:sgprBeta+1], v[vgprValuC+240:vgprValuC+240+1] // finalSum = sum*alpha + C*beta
v_fma_f64 v[vgprValuC+242:vgprValuC+242+1], v[238:239], s[sgprBeta:sgprBeta+1], v[vgprValuC+242:vgprValuC+242+1] // finalSum = sum*alpha + C*beta
s_mov_b32 s55, 4096                                // large offset
_buffer_store_b128 v[240:243], v6, s[sgprSrdD:sgprSrdD+3], s55, offen, offset:0 // store D

s_waitcnt vmcnt(29)                                // wait C (interleaved) 29 = 30 - 29 + 29 - 1
v_fma_f64 v[vgprValuC+248:vgprValuC+248+1], v[244:245], s[sgprBeta:sgprBeta+1], v[vgprValuC+248:vgprValuC+248+1] // finalSum = sum*alpha + C*beta
v_fma_f64 v[vgprValuC+250:vgprValuC+250+1], v[246:247], s[sgprBeta:sgprBeta+1], v[vgprValuC+250:vgprValuC+250+1] // finalSum = sum*alpha + C*beta
s_mov_b32 s55, 5120                                // large offset
_buffer_store_b128 v[248:251], v6, s[sgprSrdD:sgprSrdD+3], s55, offen, offset:0 // store D
s_nop 0                                            // 1 wait state required when next inst writes vgprs held by previous dwordx4 store inst
/* optSingleColVgpr=1 optSharedColVgpr=0 optSGPRUsage=BufferLoad_Mask optSrdIncForRow=1 */

/******************************************/
/* Global Write Alpha Beta Batch #1 (d1,d0,vc1,vc0) = */
/*    (3,6,0,0:vw2); (3,7,0,0:vw2); (4,0,0,0:vw2); (4,1,0,0:vw2); (4,2,0,0:vw2); (4,3,0,0:vw2); (4,4,0,0:vw2); (4,5,0,0:vw2); (4,6,0,0:vw2); (4,7,0,0:vw2); (5,0,0,0:vw2); (5,1,0,0:vw2); (5,2,0,0:vw2); (5,3,0,0:vw2); (5,4,0,0:vw2); (5,5,0,0:vw2); (5,6,0,0:vw2); (5,7,0,0:vw2); (6,0,0,0:vw2); (6,1,0,0:vw2); (6,2,0,0:vw2); (6,3,0,0:vw2); (6,4,0,0:vw2); (6,5,0,0:vw2); (6,6,0,0:vw2); (6,7,0,0:vw2); (7,0,0,0:vw2); (7,1,0,0:vw2); (7,2,0,0:vw2); (7,3,0,0:vw2) */
/******************************************/

/* calc coords, apply mask, and issue loads (if necessary) */
/* (d1,vc1,d0,vc0)=(3,0,6,0) */
s_mov_b32 s55, 6144                                // large offset
_buffer_load_b128 v[8:11], v7, s[sgprSrdC:sgprSrdC+3], s55, offen offset:0 // load C for beta calc
/* (d1,vc1,d0,vc0)=(3,0,7,0) */
s_mov_b32 s55, 7168                                // large offset
_buffer_load_b128 v[16:19], v7, s[sgprSrdC:sgprSrdC+3], s55, offen offset:0 // load C for beta calc
/* (d1,vc1,d0,vc0)=(4,0,0,0) */
s_mul_i32 s56, s[sgprStrideC1J], 32                // scale StrideC *= numRows(4) * bpe
s_add_u32  s[sgprSrdC+0], s[sgprSrdC+0], s56       // incToNextRow: gra SRD += inc(lower)
s_addc_u32  s[sgprSrdC+1], s[sgprSrdC+1], 0        // incToNextRow: gra SRD += inc(upper)
_buffer_load_b128 v[24:27], v7, s[sgprSrdC:sgprSrdC+3], 0, offen offset:0 // load C for beta calc
/* (d1,vc1,d0,vc0)=(4,0,1,0) */
_buffer_load_b128 v[32:35], v7, s[sgprSrdC:sgprSrdC+3], 0, offen offset:1024 // load C for beta calc
/* (d1,vc1,d0,vc0)=(4,0,2,0) */
_buffer_load_b128 v[40:43], v7, s[sgprSrdC:sgprSrdC+3], 0, offen offset:2048 // load C for beta calc
/* (d1,vc1,d0,vc0)=(4,0,3,0) */
_buffer_load_b128 v[48:51], v7, s[sgprSrdC:sgprSrdC+3], 0, offen offset:3072 // load C for beta calc
/* (d1,vc1,d0,vc0)=(4,0,4,0) */
s_mov_b32 s55, 4096                                // large offset
_buffer_load_b128 v[56:59], v7, s[sgprSrdC:sgprSrdC+3], s55, offen offset:0 // load C for beta calc
/* (d1,vc1,d0,vc0)=(4,0,5,0) */
s_mov_b32 s55, 5120                                // large offset
_buffer_load_b128 v[64:67], v7, s[sgprSrdC:sgprSrdC+3], s55, offen offset:0 // load C for beta calc
/* (d1,vc1,d0,vc0)=(4,0,6,0) */
s_mov_b32 s55, 6144                                // large offset
_buffer_load_b128 v[72:75], v7, s[sgprSrdC:sgprSrdC+3], s55, offen offset:0 // load C for beta calc
/* (d1,vc1,d0,vc0)=(4,0,7,0) */
s_mov_b32 s55, 7168                                // large offset
_buffer_load_b128 v[80:83], v7, s[sgprSrdC:sgprSrdC+3], s55, offen offset:0 // load C for beta calc
/* (d1,vc1,d0,vc0)=(5,0,0,0) */
s_mul_i32 s56, s[sgprStrideC1J], 32                // scale StrideC *= numRows(4) * bpe
s_add_u32  s[sgprSrdC+0], s[sgprSrdC+0], s56       // incToNextRow: gra SRD += inc(lower)
s_addc_u32  s[sgprSrdC+1], s[sgprSrdC+1], 0        // incToNextRow: gra SRD += inc(upper)
_buffer_load_b128 v[88:91], v7, s[sgprSrdC:sgprSrdC+3], 0, offen offset:0 // load C for beta calc
/* (d1,vc1,d0,vc0)=(5,0,1,0) */
_buffer_load_b128 v[96:99], v7, s[sgprSrdC:sgprSrdC+3], 0, offen offset:1024 // load C for beta calc
/* (d1,vc1,d0,vc0)=(5,0,2,0) */
_buffer_load_b128 v[104:107], v7, s[sgprSrdC:sgprSrdC+3], 0, offen offset:2048 // load C for beta calc
/* (d1,vc1,d0,vc0)=(5,0,3,0) */
_buffer_load_b128 v[112:115], v7, s[sgprSrdC:sgprSrdC+3], 0, offen offset:3072 // load C for beta calc
/* (d1,vc1,d0,vc0)=(5,0,4,0) */
s_mov_b32 s55, 4096                                // large offset
_buffer_load_b128 v[120:123], v7, s[sgprSrdC:sgprSrdC+3], s55, offen offset:0 // load C for beta calc
/* (d1,vc1,d0,vc0)=(5,0,5,0) */
s_mov_b32 s55, 5120                                // large offset
_buffer_load_b128 v[128:131], v7, s[sgprSrdC:sgprSrdC+3], s55, offen offset:0 // load C for beta calc
	;; [unrolled: 23-line block ×3, first 2 shown]
/* (d1,vc1,d0,vc0)=(6,0,6,0) */
s_mov_b32 s55, 6144                                // large offset
_buffer_load_b128 v[204:207], v7, s[sgprSrdC:sgprSrdC+3], s55, offen offset:0 // load C for beta calc
/* (d1,vc1,d0,vc0)=(6,0,7,0) */
s_mov_b32 s55, 7168                                // large offset
_buffer_load_b128 v[212:215], v7, s[sgprSrdC:sgprSrdC+3], s55, offen offset:0 // load C for beta calc
/* (d1,vc1,d0,vc0)=(7,0,0,0) */
s_mul_i32 s56, s[sgprStrideC1J], 32                // scale StrideC *= numRows(4) * bpe
s_add_u32  s[sgprSrdC+0], s[sgprSrdC+0], s56       // incToNextRow: gra SRD += inc(lower)
s_addc_u32  s[sgprSrdC+1], s[sgprSrdC+1], 0        // incToNextRow: gra SRD += inc(upper)
_buffer_load_b128 v[220:223], v7, s[sgprSrdC:sgprSrdC+3], 0, offen offset:0 // load C for beta calc
/* (d1,vc1,d0,vc0)=(7,0,1,0) */
_buffer_load_b128 v[228:231], v7, s[sgprSrdC:sgprSrdC+3], 0, offen offset:1024 // load C for beta calc
/* (d1,vc1,d0,vc0)=(7,0,2,0) */
	;; [unrolled: 2-line block ×3, first 2 shown]
_buffer_load_b128 v[244:247], v7, s[sgprSrdC:sgprSrdC+3], 0, offen offset:3072 // load C for beta calc
v_accvgpr_read_b32 v[vgprValuC+12], acc102 // copy acc to vreg[120]
v_accvgpr_read_b32 v[vgprValuC+13], acc103 // copy acc to vreg[121]
v_accvgpr_read_b32 v[vgprValuC+14], acc110 // copy acc to vreg[122]
v_accvgpr_read_b32 v[vgprValuC+15], acc111 // copy acc to vreg[123]
v_accvgpr_read_b32 v[vgprValuC+20], acc118 // copy acc to vreg[124]
v_accvgpr_read_b32 v[vgprValuC+21], acc119 // copy acc to vreg[125]
v_accvgpr_read_b32 v[vgprValuC+22], acc126 // copy acc to vreg[126]
v_accvgpr_read_b32 v[vgprValuC+23], acc127 // copy acc to vreg[127]
v_accvgpr_read_b32 v[vgprValuC+28], acc128 // copy acc to vreg[128]
v_accvgpr_read_b32 v[vgprValuC+29], acc129 // copy acc to vreg[129]
v_accvgpr_read_b32 v[vgprValuC+30], acc136 // copy acc to vreg[130]
v_accvgpr_read_b32 v[vgprValuC+31], acc137 // copy acc to vreg[131]
v_accvgpr_read_b32 v[vgprValuC+36], acc144 // copy acc to vreg[132]
v_accvgpr_read_b32 v[vgprValuC+37], acc145 // copy acc to vreg[133]
v_accvgpr_read_b32 v[vgprValuC+38], acc152 // copy acc to vreg[134]
v_accvgpr_read_b32 v[vgprValuC+39], acc153 // copy acc to vreg[135]
v_accvgpr_read_b32 v[vgprValuC+44], acc160 // copy acc to vreg[136]
v_accvgpr_read_b32 v[vgprValuC+45], acc161 // copy acc to vreg[137]
v_accvgpr_read_b32 v[vgprValuC+46], acc168 // copy acc to vreg[138]
v_accvgpr_read_b32 v[vgprValuC+47], acc169 // copy acc to vreg[139]
v_accvgpr_read_b32 v[vgprValuC+52], acc176 // copy acc to vreg[140]
v_accvgpr_read_b32 v[vgprValuC+53], acc177 // copy acc to vreg[141]
v_accvgpr_read_b32 v[vgprValuC+54], acc184 // copy acc to vreg[142]
v_accvgpr_read_b32 v[vgprValuC+55], acc185 // copy acc to vreg[143]
v_accvgpr_read_b32 v[vgprValuC+60], acc192 // copy acc to vreg[144]
v_accvgpr_read_b32 v[vgprValuC+61], acc193 // copy acc to vreg[145]
v_accvgpr_read_b32 v[vgprValuC+62], acc200 // copy acc to vreg[146]
v_accvgpr_read_b32 v[vgprValuC+63], acc201 // copy acc to vreg[147]
v_accvgpr_read_b32 v[vgprValuC+68], acc208 // copy acc to vreg[148]
v_accvgpr_read_b32 v[vgprValuC+69], acc209 // copy acc to vreg[149]
v_accvgpr_read_b32 v[vgprValuC+70], acc216 // copy acc to vreg[150]
v_accvgpr_read_b32 v[vgprValuC+71], acc217 // copy acc to vreg[151]
v_accvgpr_read_b32 v[vgprValuC+76], acc224 // copy acc to vreg[152]
v_accvgpr_read_b32 v[vgprValuC+77], acc225 // copy acc to vreg[153]
v_accvgpr_read_b32 v[vgprValuC+78], acc232 // copy acc to vreg[154]
v_accvgpr_read_b32 v[vgprValuC+79], acc233 // copy acc to vreg[155]
v_accvgpr_read_b32 v[vgprValuC+84], acc240 // copy acc to vreg[156]
v_accvgpr_read_b32 v[vgprValuC+85], acc241 // copy acc to vreg[157]
v_accvgpr_read_b32 v[vgprValuC+86], acc248 // copy acc to vreg[158]
v_accvgpr_read_b32 v[vgprValuC+87], acc249 // copy acc to vreg[159]
v_accvgpr_read_b32 v[vgprValuC+92], acc130 // copy acc to vreg[160]
v_accvgpr_read_b32 v[vgprValuC+93], acc131 // copy acc to vreg[161]
v_accvgpr_read_b32 v[vgprValuC+94], acc138 // copy acc to vreg[162]
v_accvgpr_read_b32 v[vgprValuC+95], acc139 // copy acc to vreg[163]
v_accvgpr_read_b32 v[vgprValuC+100], acc146 // copy acc to vreg[164]
v_accvgpr_read_b32 v[vgprValuC+101], acc147 // copy acc to vreg[165]
v_accvgpr_read_b32 v[vgprValuC+102], acc154 // copy acc to vreg[166]
v_accvgpr_read_b32 v[vgprValuC+103], acc155 // copy acc to vreg[167]
v_accvgpr_read_b32 v[vgprValuC+108], acc162 // copy acc to vreg[168]
v_accvgpr_read_b32 v[vgprValuC+109], acc163 // copy acc to vreg[169]
v_accvgpr_read_b32 v[vgprValuC+110], acc170 // copy acc to vreg[170]
v_accvgpr_read_b32 v[vgprValuC+111], acc171 // copy acc to vreg[171]
v_accvgpr_read_b32 v[vgprValuC+116], acc178 // copy acc to vreg[172]
v_accvgpr_read_b32 v[vgprValuC+117], acc179 // copy acc to vreg[173]
v_accvgpr_read_b32 v[vgprValuC+118], acc186 // copy acc to vreg[174]
v_accvgpr_read_b32 v[vgprValuC+119], acc187 // copy acc to vreg[175]
v_accvgpr_read_b32 v[vgprValuC+124], acc194 // copy acc to vreg[176]
v_accvgpr_read_b32 v[vgprValuC+125], acc195 // copy acc to vreg[177]
v_accvgpr_read_b32 v[vgprValuC+126], acc202 // copy acc to vreg[178]
v_accvgpr_read_b32 v[vgprValuC+127], acc203 // copy acc to vreg[179]
v_accvgpr_read_b32 v[vgprValuC+132], acc210 // copy acc to vreg[180]
v_accvgpr_read_b32 v[vgprValuC+133], acc211 // copy acc to vreg[181]
v_accvgpr_read_b32 v[vgprValuC+134], acc218 // copy acc to vreg[182]
v_accvgpr_read_b32 v[vgprValuC+135], acc219 // copy acc to vreg[183]
v_accvgpr_read_b32 v[vgprValuC+140], acc226 // copy acc to vreg[184]
v_accvgpr_read_b32 v[vgprValuC+141], acc227 // copy acc to vreg[185]
v_accvgpr_read_b32 v[vgprValuC+142], acc234 // copy acc to vreg[186]
v_accvgpr_read_b32 v[vgprValuC+143], acc235 // copy acc to vreg[187]
v_accvgpr_read_b32 v[vgprValuC+148], acc242 // copy acc to vreg[188]
v_accvgpr_read_b32 v[vgprValuC+149], acc243 // copy acc to vreg[189]
v_accvgpr_read_b32 v[vgprValuC+150], acc250 // copy acc to vreg[190]
v_accvgpr_read_b32 v[vgprValuC+151], acc251 // copy acc to vreg[191]
v_accvgpr_read_b32 v[vgprValuC+160], acc132 // copy acc to vreg[192]
v_accvgpr_read_b32 v[vgprValuC+161], acc133 // copy acc to vreg[193]
v_accvgpr_read_b32 v[vgprValuC+162], acc140 // copy acc to vreg[194]
v_accvgpr_read_b32 v[vgprValuC+163], acc141 // copy acc to vreg[195]
v_accvgpr_read_b32 v[vgprValuC+168], acc148 // copy acc to vreg[196]
v_accvgpr_read_b32 v[vgprValuC+169], acc149 // copy acc to vreg[197]
v_accvgpr_read_b32 v[vgprValuC+170], acc156 // copy acc to vreg[198]
v_accvgpr_read_b32 v[vgprValuC+171], acc157 // copy acc to vreg[199]
v_accvgpr_read_b32 v[vgprValuC+176], acc164 // copy acc to vreg[200]
v_accvgpr_read_b32 v[vgprValuC+177], acc165 // copy acc to vreg[201]
v_accvgpr_read_b32 v[vgprValuC+178], acc172 // copy acc to vreg[202]
v_accvgpr_read_b32 v[vgprValuC+179], acc173 // copy acc to vreg[203]
v_accvgpr_read_b32 v[vgprValuC+184], acc180 // copy acc to vreg[204]
v_accvgpr_read_b32 v[vgprValuC+185], acc181 // copy acc to vreg[205]
v_accvgpr_read_b32 v[vgprValuC+186], acc188 // copy acc to vreg[206]
v_accvgpr_read_b32 v[vgprValuC+187], acc189 // copy acc to vreg[207]
v_accvgpr_read_b32 v[vgprValuC+192], acc196 // copy acc to vreg[208]
v_accvgpr_read_b32 v[vgprValuC+193], acc197 // copy acc to vreg[209]
v_accvgpr_read_b32 v[vgprValuC+194], acc204 // copy acc to vreg[210]
v_accvgpr_read_b32 v[vgprValuC+195], acc205 // copy acc to vreg[211]
v_accvgpr_read_b32 v[vgprValuC+200], acc212 // copy acc to vreg[212]
v_accvgpr_read_b32 v[vgprValuC+201], acc213 // copy acc to vreg[213]
v_accvgpr_read_b32 v[vgprValuC+202], acc220 // copy acc to vreg[214]
v_accvgpr_read_b32 v[vgprValuC+203], acc221 // copy acc to vreg[215]
v_accvgpr_read_b32 v[vgprValuC+208], acc228 // copy acc to vreg[216]
v_accvgpr_read_b32 v[vgprValuC+209], acc229 // copy acc to vreg[217]
v_accvgpr_read_b32 v[vgprValuC+210], acc236 // copy acc to vreg[218]
v_accvgpr_read_b32 v[vgprValuC+211], acc237 // copy acc to vreg[219]
v_accvgpr_read_b32 v[vgprValuC+216], acc244 // copy acc to vreg[220]
v_accvgpr_read_b32 v[vgprValuC+217], acc245 // copy acc to vreg[221]
v_accvgpr_read_b32 v[vgprValuC+218], acc252 // copy acc to vreg[222]
v_accvgpr_read_b32 v[vgprValuC+219], acc253 // copy acc to vreg[223]
v_accvgpr_read_b32 v[vgprValuC+224], acc134 // copy acc to vreg[224]
v_accvgpr_read_b32 v[vgprValuC+225], acc135 // copy acc to vreg[225]
v_accvgpr_read_b32 v[vgprValuC+226], acc142 // copy acc to vreg[226]
v_accvgpr_read_b32 v[vgprValuC+227], acc143 // copy acc to vreg[227]
v_accvgpr_read_b32 v[vgprValuC+232], acc150 // copy acc to vreg[228]
v_accvgpr_read_b32 v[vgprValuC+233], acc151 // copy acc to vreg[229]
v_accvgpr_read_b32 v[vgprValuC+234], acc158 // copy acc to vreg[230]
v_accvgpr_read_b32 v[vgprValuC+235], acc159 // copy acc to vreg[231]
v_accvgpr_read_b32 v[vgprValuC+240], acc166 // copy acc to vreg[232]
v_accvgpr_read_b32 v[vgprValuC+241], acc167 // copy acc to vreg[233]
v_accvgpr_read_b32 v[vgprValuC+242], acc174 // copy acc to vreg[234]
v_accvgpr_read_b32 v[vgprValuC+243], acc175 // copy acc to vreg[235]
v_accvgpr_read_b32 v[vgprValuC+248], acc182 // copy acc to vreg[236]
v_accvgpr_read_b32 v[vgprValuC+249], acc183 // copy acc to vreg[237]
v_accvgpr_read_b32 v[vgprValuC+250], acc190 // copy acc to vreg[238]
v_accvgpr_read_b32 v[vgprValuC+251], acc191 // copy acc to vreg[239]
s_nop 1                                            // 2 wait states required before reading vgpr

/* rC *= alpha batchElements=[(3, 6, 0, 0), (3, 7, 0, 0), (4, 0, 0, 0), (4, 1, 0, 0), (4, 2, 0, 0), (4, 3, 0, 0), (4, 4, 0, 0), (4, 5, 0, 0), (4, 6, 0, 0), (4, 7, 0, 0), (5, 0, 0, 0), (5, 1, 0, 0), (5, 2, 0, 0), (5, 3, 0, 0), (5, 4, 0, 0), (5, 5, 0, 0), (5, 6, 0, 0), (5, 7, 0, 0), (6, 0, 0, 0), (6, 1, 0, 0), (6, 2, 0, 0), (6, 3, 0, 0), (6, 4, 0, 0), (6, 5, 0, 0), (6, 6, 0, 0), (6, 7, 0, 0), (7, 0, 0, 0), (7, 1, 0, 0), (7, 2, 0, 0), (7, 3, 0, 0)] */
v_mul_f64 v[vgprValuC+12:vgprValuC+12+1], s[sgprAlpha:sgprAlpha+1], v[vgprValuC+12:vgprValuC+12+1] // *= alpha
v_mul_f64 v[vgprValuC+14:vgprValuC+14+1], s[sgprAlpha:sgprAlpha+1], v[vgprValuC+14:vgprValuC+14+1] // *= alpha
	;; [unrolled: 1-line block ×60, first 2 shown]

/* apply mask, calc new C and issue writes */

s_waitcnt vmcnt(29)                                // wait C (interleaved) 29 = 30 - 0 + 0 - 1
v_fma_f64 v[vgprValuC+12:vgprValuC+12+1], v[8:9], s[sgprBeta:sgprBeta+1], v[vgprValuC+12:vgprValuC+12+1] // finalSum = sum*alpha + C*beta
v_fma_f64 v[vgprValuC+14:vgprValuC+14+1], v[10:11], s[sgprBeta:sgprBeta+1], v[vgprValuC+14:vgprValuC+14+1] // finalSum = sum*alpha + C*beta
s_mov_b32 s55, 6144                                // large offset
_buffer_store_b128 v[12:15], v6, s[sgprSrdD:sgprSrdD+3], s55, offen, offset:0 // store D

s_waitcnt vmcnt(29)                                // wait C (interleaved) 29 = 30 - 1 + 1 - 1
v_fma_f64 v[vgprValuC+20:vgprValuC+20+1], v[16:17], s[sgprBeta:sgprBeta+1], v[vgprValuC+20:vgprValuC+20+1] // finalSum = sum*alpha + C*beta
v_fma_f64 v[vgprValuC+22:vgprValuC+22+1], v[18:19], s[sgprBeta:sgprBeta+1], v[vgprValuC+22:vgprValuC+22+1] // finalSum = sum*alpha + C*beta
s_mov_b32 s55, 7168                                // large offset
_buffer_store_b128 v[20:23], v6, s[sgprSrdD:sgprSrdD+3], s55, offen, offset:0 // store D

s_waitcnt vmcnt(29)                                // wait C (interleaved) 29 = 30 - 2 + 2 - 1
v_fma_f64 v[vgprValuC+28:vgprValuC+28+1], v[24:25], s[sgprBeta:sgprBeta+1], v[vgprValuC+28:vgprValuC+28+1] // finalSum = sum*alpha + C*beta
v_fma_f64 v[vgprValuC+30:vgprValuC+30+1], v[26:27], s[sgprBeta:sgprBeta+1], v[vgprValuC+30:vgprValuC+30+1] // finalSum = sum*alpha + C*beta
s_mul_i32 s56, s[sgprStrideD1J], 32                // scale StrideD *= numRows(4) * bpe
s_add_u32  s[sgprSrdD+0], s[sgprSrdD+0], s56       // incToNextRow: gra SRD += inc(lower)
s_addc_u32  s[sgprSrdD+1], s[sgprSrdD+1], 0        // incToNextRow: gra SRD += inc(upper)
_buffer_store_b128 v[28:31], v6, s[sgprSrdD:sgprSrdD+3], 0, offen, offset:0 // store D

s_waitcnt vmcnt(29)                                // wait C (interleaved) 29 = 30 - 3 + 3 - 1
v_fma_f64 v[vgprValuC+36:vgprValuC+36+1], v[32:33], s[sgprBeta:sgprBeta+1], v[vgprValuC+36:vgprValuC+36+1] // finalSum = sum*alpha + C*beta
v_fma_f64 v[vgprValuC+38:vgprValuC+38+1], v[34:35], s[sgprBeta:sgprBeta+1], v[vgprValuC+38:vgprValuC+38+1] // finalSum = sum*alpha + C*beta
_buffer_store_b128 v[36:39], v6, s[sgprSrdD:sgprSrdD+3], 0, offen, offset:1024 // store D

s_waitcnt vmcnt(29)                                // wait C (interleaved) 29 = 30 - 4 + 4 - 1
v_fma_f64 v[vgprValuC+44:vgprValuC+44+1], v[40:41], s[sgprBeta:sgprBeta+1], v[vgprValuC+44:vgprValuC+44+1] // finalSum = sum*alpha + C*beta
v_fma_f64 v[vgprValuC+46:vgprValuC+46+1], v[42:43], s[sgprBeta:sgprBeta+1], v[vgprValuC+46:vgprValuC+46+1] // finalSum = sum*alpha + C*beta
_buffer_store_b128 v[44:47], v6, s[sgprSrdD:sgprSrdD+3], 0, offen, offset:2048 // store D

s_waitcnt vmcnt(29)                                // wait C (interleaved) 29 = 30 - 5 + 5 - 1
v_fma_f64 v[vgprValuC+52:vgprValuC+52+1], v[48:49], s[sgprBeta:sgprBeta+1], v[vgprValuC+52:vgprValuC+52+1] // finalSum = sum*alpha + C*beta
v_fma_f64 v[vgprValuC+54:vgprValuC+54+1], v[50:51], s[sgprBeta:sgprBeta+1], v[vgprValuC+54:vgprValuC+54+1] // finalSum = sum*alpha + C*beta
_buffer_store_b128 v[52:55], v6, s[sgprSrdD:sgprSrdD+3], 0, offen, offset:3072 // store D

s_waitcnt vmcnt(29)                                // wait C (interleaved) 29 = 30 - 6 + 6 - 1
v_fma_f64 v[vgprValuC+60:vgprValuC+60+1], v[56:57], s[sgprBeta:sgprBeta+1], v[vgprValuC+60:vgprValuC+60+1] // finalSum = sum*alpha + C*beta
v_fma_f64 v[vgprValuC+62:vgprValuC+62+1], v[58:59], s[sgprBeta:sgprBeta+1], v[vgprValuC+62:vgprValuC+62+1] // finalSum = sum*alpha + C*beta
s_mov_b32 s55, 4096                                // large offset
_buffer_store_b128 v[60:63], v6, s[sgprSrdD:sgprSrdD+3], s55, offen, offset:0 // store D

s_waitcnt vmcnt(29)                                // wait C (interleaved) 29 = 30 - 7 + 7 - 1
v_fma_f64 v[vgprValuC+68:vgprValuC+68+1], v[64:65], s[sgprBeta:sgprBeta+1], v[vgprValuC+68:vgprValuC+68+1] // finalSum = sum*alpha + C*beta
v_fma_f64 v[vgprValuC+70:vgprValuC+70+1], v[66:67], s[sgprBeta:sgprBeta+1], v[vgprValuC+70:vgprValuC+70+1] // finalSum = sum*alpha + C*beta
s_mov_b32 s55, 5120                                // large offset
_buffer_store_b128 v[68:71], v6, s[sgprSrdD:sgprSrdD+3], s55, offen, offset:0 // store D

s_waitcnt vmcnt(29)                                // wait C (interleaved) 29 = 30 - 8 + 8 - 1
v_fma_f64 v[vgprValuC+76:vgprValuC+76+1], v[72:73], s[sgprBeta:sgprBeta+1], v[vgprValuC+76:vgprValuC+76+1] // finalSum = sum*alpha + C*beta
v_fma_f64 v[vgprValuC+78:vgprValuC+78+1], v[74:75], s[sgprBeta:sgprBeta+1], v[vgprValuC+78:vgprValuC+78+1] // finalSum = sum*alpha + C*beta
s_mov_b32 s55, 6144                                // large offset
_buffer_store_b128 v[76:79], v6, s[sgprSrdD:sgprSrdD+3], s55, offen, offset:0 // store D

s_waitcnt vmcnt(29)                                // wait C (interleaved) 29 = 30 - 9 + 9 - 1
v_fma_f64 v[vgprValuC+84:vgprValuC+84+1], v[80:81], s[sgprBeta:sgprBeta+1], v[vgprValuC+84:vgprValuC+84+1] // finalSum = sum*alpha + C*beta
v_fma_f64 v[vgprValuC+86:vgprValuC+86+1], v[82:83], s[sgprBeta:sgprBeta+1], v[vgprValuC+86:vgprValuC+86+1] // finalSum = sum*alpha + C*beta
s_mov_b32 s55, 7168                                // large offset
_buffer_store_b128 v[84:87], v6, s[sgprSrdD:sgprSrdD+3], s55, offen, offset:0 // store D

s_waitcnt vmcnt(29)                                // wait C (interleaved) 29 = 30 - 10 + 10 - 1
v_fma_f64 v[vgprValuC+92:vgprValuC+92+1], v[88:89], s[sgprBeta:sgprBeta+1], v[vgprValuC+92:vgprValuC+92+1] // finalSum = sum*alpha + C*beta
v_fma_f64 v[vgprValuC+94:vgprValuC+94+1], v[90:91], s[sgprBeta:sgprBeta+1], v[vgprValuC+94:vgprValuC+94+1] // finalSum = sum*alpha + C*beta
s_mul_i32 s56, s[sgprStrideD1J], 32                // scale StrideD *= numRows(4) * bpe
s_add_u32  s[sgprSrdD+0], s[sgprSrdD+0], s56       // incToNextRow: gra SRD += inc(lower)
s_addc_u32  s[sgprSrdD+1], s[sgprSrdD+1], 0        // incToNextRow: gra SRD += inc(upper)
_buffer_store_b128 v[92:95], v6, s[sgprSrdD:sgprSrdD+3], 0, offen, offset:0 // store D

s_waitcnt vmcnt(29)                                // wait C (interleaved) 29 = 30 - 11 + 11 - 1
v_fma_f64 v[vgprValuC+100:vgprValuC+100+1], v[96:97], s[sgprBeta:sgprBeta+1], v[vgprValuC+100:vgprValuC+100+1] // finalSum = sum*alpha + C*beta
v_fma_f64 v[vgprValuC+102:vgprValuC+102+1], v[98:99], s[sgprBeta:sgprBeta+1], v[vgprValuC+102:vgprValuC+102+1] // finalSum = sum*alpha + C*beta
_buffer_store_b128 v[100:103], v6, s[sgprSrdD:sgprSrdD+3], 0, offen, offset:1024 // store D

s_waitcnt vmcnt(29)                                // wait C (interleaved) 29 = 30 - 12 + 12 - 1
v_fma_f64 v[vgprValuC+108:vgprValuC+108+1], v[104:105], s[sgprBeta:sgprBeta+1], v[vgprValuC+108:vgprValuC+108+1] // finalSum = sum*alpha + C*beta
v_fma_f64 v[vgprValuC+110:vgprValuC+110+1], v[106:107], s[sgprBeta:sgprBeta+1], v[vgprValuC+110:vgprValuC+110+1] // finalSum = sum*alpha + C*beta
_buffer_store_b128 v[108:111], v6, s[sgprSrdD:sgprSrdD+3], 0, offen, offset:2048 // store D

s_waitcnt vmcnt(29)                                // wait C (interleaved) 29 = 30 - 13 + 13 - 1
v_fma_f64 v[vgprValuC+116:vgprValuC+116+1], v[112:113], s[sgprBeta:sgprBeta+1], v[vgprValuC+116:vgprValuC+116+1] // finalSum = sum*alpha + C*beta
v_fma_f64 v[vgprValuC+118:vgprValuC+118+1], v[114:115], s[sgprBeta:sgprBeta+1], v[vgprValuC+118:vgprValuC+118+1] // finalSum = sum*alpha + C*beta
_buffer_store_b128 v[116:119], v6, s[sgprSrdD:sgprSrdD+3], 0, offen, offset:3072 // store D

s_waitcnt vmcnt(29)                                // wait C (interleaved) 29 = 30 - 14 + 14 - 1
v_fma_f64 v[vgprValuC+124:vgprValuC+124+1], v[120:121], s[sgprBeta:sgprBeta+1], v[vgprValuC+124:vgprValuC+124+1] // finalSum = sum*alpha + C*beta
v_fma_f64 v[vgprValuC+126:vgprValuC+126+1], v[122:123], s[sgprBeta:sgprBeta+1], v[vgprValuC+126:vgprValuC+126+1] // finalSum = sum*alpha + C*beta
s_mov_b32 s55, 4096                                // large offset
_buffer_store_b128 v[124:127], v6, s[sgprSrdD:sgprSrdD+3], s55, offen, offset:0 // store D

s_waitcnt vmcnt(29)                                // wait C (interleaved) 29 = 30 - 15 + 15 - 1
v_fma_f64 v[vgprValuC+132:vgprValuC+132+1], v[128:129], s[sgprBeta:sgprBeta+1], v[vgprValuC+132:vgprValuC+132+1] // finalSum = sum*alpha + C*beta
v_fma_f64 v[vgprValuC+134:vgprValuC+134+1], v[130:131], s[sgprBeta:sgprBeta+1], v[vgprValuC+134:vgprValuC+134+1] // finalSum = sum*alpha + C*beta
s_mov_b32 s55, 5120                                // large offset
_buffer_store_b128 v[132:135], v6, s[sgprSrdD:sgprSrdD+3], s55, offen, offset:0 // store D
	;; [unrolled: 47-line block ×3, first 2 shown]

s_waitcnt vmcnt(29)                                // wait C (interleaved) 29 = 30 - 24 + 24 - 1
v_fma_f64 v[vgprValuC+208:vgprValuC+208+1], v[204:205], s[sgprBeta:sgprBeta+1], v[vgprValuC+208:vgprValuC+208+1] // finalSum = sum*alpha + C*beta
v_fma_f64 v[vgprValuC+210:vgprValuC+210+1], v[206:207], s[sgprBeta:sgprBeta+1], v[vgprValuC+210:vgprValuC+210+1] // finalSum = sum*alpha + C*beta
s_mov_b32 s55, 6144                                // large offset
_buffer_store_b128 v[208:211], v6, s[sgprSrdD:sgprSrdD+3], s55, offen, offset:0 // store D

s_waitcnt vmcnt(29)                                // wait C (interleaved) 29 = 30 - 25 + 25 - 1
v_fma_f64 v[vgprValuC+216:vgprValuC+216+1], v[212:213], s[sgprBeta:sgprBeta+1], v[vgprValuC+216:vgprValuC+216+1] // finalSum = sum*alpha + C*beta
v_fma_f64 v[vgprValuC+218:vgprValuC+218+1], v[214:215], s[sgprBeta:sgprBeta+1], v[vgprValuC+218:vgprValuC+218+1] // finalSum = sum*alpha + C*beta
s_mov_b32 s55, 7168                                // large offset
_buffer_store_b128 v[216:219], v6, s[sgprSrdD:sgprSrdD+3], s55, offen, offset:0 // store D

s_waitcnt vmcnt(29)                                // wait C (interleaved) 29 = 30 - 26 + 26 - 1
v_fma_f64 v[vgprValuC+224:vgprValuC+224+1], v[220:221], s[sgprBeta:sgprBeta+1], v[vgprValuC+224:vgprValuC+224+1] // finalSum = sum*alpha + C*beta
v_fma_f64 v[vgprValuC+226:vgprValuC+226+1], v[222:223], s[sgprBeta:sgprBeta+1], v[vgprValuC+226:vgprValuC+226+1] // finalSum = sum*alpha + C*beta
s_mul_i32 s56, s[sgprStrideD1J], 32                // scale StrideD *= numRows(4) * bpe
s_add_u32  s[sgprSrdD+0], s[sgprSrdD+0], s56       // incToNextRow: gra SRD += inc(lower)
s_addc_u32  s[sgprSrdD+1], s[sgprSrdD+1], 0        // incToNextRow: gra SRD += inc(upper)
_buffer_store_b128 v[224:227], v6, s[sgprSrdD:sgprSrdD+3], 0, offen, offset:0 // store D

s_waitcnt vmcnt(29)                                // wait C (interleaved) 29 = 30 - 27 + 27 - 1
v_fma_f64 v[vgprValuC+232:vgprValuC+232+1], v[228:229], s[sgprBeta:sgprBeta+1], v[vgprValuC+232:vgprValuC+232+1] // finalSum = sum*alpha + C*beta
v_fma_f64 v[vgprValuC+234:vgprValuC+234+1], v[230:231], s[sgprBeta:sgprBeta+1], v[vgprValuC+234:vgprValuC+234+1] // finalSum = sum*alpha + C*beta
_buffer_store_b128 v[232:235], v6, s[sgprSrdD:sgprSrdD+3], 0, offen, offset:1024 // store D

s_waitcnt vmcnt(29)                                // wait C (interleaved) 29 = 30 - 28 + 28 - 1
v_fma_f64 v[vgprValuC+240:vgprValuC+240+1], v[236:237], s[sgprBeta:sgprBeta+1], v[vgprValuC+240:vgprValuC+240+1] // finalSum = sum*alpha + C*beta
v_fma_f64 v[vgprValuC+242:vgprValuC+242+1], v[238:239], s[sgprBeta:sgprBeta+1], v[vgprValuC+242:vgprValuC+242+1] // finalSum = sum*alpha + C*beta
	;; [unrolled: 5-line block ×3, first 2 shown]
_buffer_store_b128 v[248:251], v6, s[sgprSrdD:sgprSrdD+3], 0, offen, offset:3072 // store D
s_nop 0                                            // 1 wait state required when next inst writes vgprs held by previous dwordx4 store inst
/* optSingleColVgpr=1 optSharedColVgpr=0 optSGPRUsage=BufferLoad_Mask optSrdIncForRow=1 */

/******************************************/
/* Global Write Alpha Beta Batch #2 (d1,d0,vc1,vc0) = */
/*    (7,4,0,0:vw2); (7,5,0,0:vw2); (7,6,0,0:vw2); (7,7,0,0:vw2) */
/******************************************/

/* calc coords, apply mask, and issue loads (if necessary) */
/* (d1,vc1,d0,vc0)=(7,0,4,0) */
s_mov_b32 s55, 4096                                // large offset
_buffer_load_b128 v[8:11], v7, s[sgprSrdC:sgprSrdC+3], s55, offen offset:0 // load C for beta calc
/* (d1,vc1,d0,vc0)=(7,0,5,0) */
s_mov_b32 s55, 5120                                // large offset
_buffer_load_b128 v[16:19], v7, s[sgprSrdC:sgprSrdC+3], s55, offen offset:0 // load C for beta calc
	;; [unrolled: 3-line block ×4, first 2 shown]
v_accvgpr_read_b32 v[vgprValuC+12], acc198 // copy acc to vreg[240]
v_accvgpr_read_b32 v[vgprValuC+13], acc199 // copy acc to vreg[241]
v_accvgpr_read_b32 v[vgprValuC+14], acc206 // copy acc to vreg[242]
v_accvgpr_read_b32 v[vgprValuC+15], acc207 // copy acc to vreg[243]
v_accvgpr_read_b32 v[vgprValuC+20], acc214 // copy acc to vreg[244]
v_accvgpr_read_b32 v[vgprValuC+21], acc215 // copy acc to vreg[245]
v_accvgpr_read_b32 v[vgprValuC+22], acc222 // copy acc to vreg[246]
v_accvgpr_read_b32 v[vgprValuC+23], acc223 // copy acc to vreg[247]
v_accvgpr_read_b32 v[vgprValuC+28], acc230 // copy acc to vreg[248]
v_accvgpr_read_b32 v[vgprValuC+29], acc231 // copy acc to vreg[249]
v_accvgpr_read_b32 v[vgprValuC+30], acc238 // copy acc to vreg[250]
v_accvgpr_read_b32 v[vgprValuC+31], acc239 // copy acc to vreg[251]
v_accvgpr_read_b32 v[vgprValuC+36], acc246 // copy acc to vreg[252]
v_accvgpr_read_b32 v[vgprValuC+37], acc247 // copy acc to vreg[253]
v_accvgpr_read_b32 v[vgprValuC+38], acc254 // copy acc to vreg[254]
v_accvgpr_read_b32 v[vgprValuC+39], acc255 // copy acc to vreg[255]
s_nop 1                                            // 2 wait states required before reading vgpr

/* rC *= alpha batchElements=[(7, 4, 0, 0), (7, 5, 0, 0), (7, 6, 0, 0), (7, 7, 0, 0)] */
v_mul_f64 v[vgprValuC+12:vgprValuC+12+1], s[sgprAlpha:sgprAlpha+1], v[vgprValuC+12:vgprValuC+12+1] // *= alpha
v_mul_f64 v[vgprValuC+14:vgprValuC+14+1], s[sgprAlpha:sgprAlpha+1], v[vgprValuC+14:vgprValuC+14+1] // *= alpha
	;; [unrolled: 1-line block ×8, first 2 shown]

/* apply mask, calc new C and issue writes */

s_waitcnt vmcnt(3)                                 // wait C (interleaved) 3 = 4 - 0 + 0 - 1
v_fma_f64 v[vgprValuC+12:vgprValuC+12+1], v[8:9], s[sgprBeta:sgprBeta+1], v[vgprValuC+12:vgprValuC+12+1] // finalSum = sum*alpha + C*beta
v_fma_f64 v[vgprValuC+14:vgprValuC+14+1], v[10:11], s[sgprBeta:sgprBeta+1], v[vgprValuC+14:vgprValuC+14+1] // finalSum = sum*alpha + C*beta
s_mov_b32 s55, 4096                                // large offset
_buffer_store_b128 v[12:15], v6, s[sgprSrdD:sgprSrdD+3], s55, offen, offset:0 // store D

s_waitcnt vmcnt(3)                                 // wait C (interleaved) 3 = 4 - 1 + 1 - 1
v_fma_f64 v[vgprValuC+20:vgprValuC+20+1], v[16:17], s[sgprBeta:sgprBeta+1], v[vgprValuC+20:vgprValuC+20+1] // finalSum = sum*alpha + C*beta
v_fma_f64 v[vgprValuC+22:vgprValuC+22+1], v[18:19], s[sgprBeta:sgprBeta+1], v[vgprValuC+22:vgprValuC+22+1] // finalSum = sum*alpha + C*beta
s_mov_b32 s55, 5120                                // large offset
_buffer_store_b128 v[20:23], v6, s[sgprSrdD:sgprSrdD+3], s55, offen, offset:0 // store D

s_waitcnt vmcnt(3)                                 // wait C (interleaved) 3 = 4 - 2 + 2 - 1
v_fma_f64 v[vgprValuC+28:vgprValuC+28+1], v[24:25], s[sgprBeta:sgprBeta+1], v[vgprValuC+28:vgprValuC+28+1] // finalSum = sum*alpha + C*beta
v_fma_f64 v[vgprValuC+30:vgprValuC+30+1], v[26:27], s[sgprBeta:sgprBeta+1], v[vgprValuC+30:vgprValuC+30+1] // finalSum = sum*alpha + C*beta
s_mov_b32 s55, 6144                                // large offset
_buffer_store_b128 v[28:31], v6, s[sgprSrdD:sgprSrdD+3], s55, offen, offset:0 // store D

s_waitcnt vmcnt(3)                                 // wait C (interleaved) 3 = 4 - 3 + 3 - 1
v_fma_f64 v[vgprValuC+36:vgprValuC+36+1], v[32:33], s[sgprBeta:sgprBeta+1], v[vgprValuC+36:vgprValuC+36+1] // finalSum = sum*alpha + C*beta
v_fma_f64 v[vgprValuC+38:vgprValuC+38+1], v[34:35], s[sgprBeta:sgprBeta+1], v[vgprValuC+38:vgprValuC+38+1] // finalSum = sum*alpha + C*beta
s_mov_b32 s55, 7168                                // large offset
_buffer_store_b128 v[36:39], v6, s[sgprSrdD:sgprSrdD+3], s55, offen, offset:0 // store D
s_nop 0                                            // 1 wait state required when next inst writes vgprs held by previous dwordx4 store inst
s_branch label_GW_End_46                           // jump to end
GW_B1_E1_45:

/* edge=1, allocate 6 sgpr. perBatchTmpS=4 perBatchMaskS=2 perElementMaskS=0 elementsPerBatch=26 */
/* optSingleColVgpr=0 optSharedColVgpr=0 optSGPRUsage=BufferLoad_Edge_Mask optSrdIncForRow=0 */

/******************************************/
/* Global Write Alpha Beta Edge Batch #0 (d1,d0,vc1,vc0) = */
/*    (0,0,0,0:vw2); (0,1,0,0:vw2); (0,2,0,0:vw2); (0,3,0,0:vw2); (0,4,0,0:vw2); (0,5,0,0:vw2); (0,6,0,0:vw2); (0,7,0,0:vw2); (1,0,0,0:vw2); (1,1,0,0:vw2); (1,2,0,0:vw2); (1,3,0,0:vw2); (1,4,0,0:vw2); (1,5,0,0:vw2); (1,6,0,0:vw2); (1,7,0,0:vw2); (2,0,0,0:vw2); (2,1,0,0:vw2); (2,2,0,0:vw2); (2,3,0,0:vw2); (2,4,0,0:vw2); (2,5,0,0:vw2); (2,6,0,0:vw2); (2,7,0,0:vw2); (3,0,0,0:vw2); (3,1,0,0:vw2) */
/******************************************/

/* calc coords, apply mask, and issue loads (if necessary) */
/* (d1,vc1,d0,vc0)=(0,0,0,0) */
v_cmp_lt_u32 s[56:57], v0, s[sgprSizeI]            // coord0 < size0
v_cmp_lt_u32 s[60:61], v1, s[sgprSizeJ]            // coord1 < size1
s_and_b64 s[60:61], s[56:57], s[60:61]             // in0 && in1
_v_add_lshl_u32 v6, v2, v0, 0x3                    // scaleToBpe: accumulate d0 lower and *= bpe into Cin addr
v_cndmask_b32 v6, -1, v6, s[60:61]                 // LDC clip if OOB. offset
_buffer_load_b128 v[8:11], v6, s[sgprSrdC:sgprSrdC+3], 0, offen offset:0 // load C for beta calc
_v_add_lshl_u32 v6, v3, v0, 0x3                    // scaleToBpe: accumulate d0 lower and *= bpe into Cin addr
v_cndmask_b32 v6, -1, v6, s[60:61]                 // LDD clip if OOB. offset
/* (d1,vc1,d0,vc0)=(0,0,1,0) */
s_mov_b32 s56, 128                                 // coordOffset0 d0=1 vc0=0
_v_add_co_u32 v4, vcc, v0, s56                     // coord0.2: coord0 += d0*sg0*VW + vc0
v_cmp_lt_u32 s[56:57], v4, s[sgprSizeI]            // coord0 < size0
v_cmp_lt_u32 s[60:61], v1, s[sgprSizeJ]            // coord1 < size1
s_and_b64 s[60:61], s[56:57], s[60:61]             // in0 && in1
_v_add_lshl_u32 v7, v2, v4, 0x3                    // scaleToBpe: accumulate d0 lower and *= bpe into Cin addr
v_cndmask_b32 v7, -1, v7, s[60:61]                 // LDC clip if OOB. offset
_buffer_load_b128 v[16:19], v7, s[sgprSrdC:sgprSrdC+3], 0, offen offset:0 // load C for beta calc
_v_add_lshl_u32 v7, v3, v4, 0x3                    // scaleToBpe: accumulate d0 lower and *= bpe into Cin addr
v_cndmask_b32 v7, -1, v7, s[60:61]                 // LDD clip if OOB. offset
/* (d1,vc1,d0,vc0)=(0,0,2,0) */
s_mov_b32 s56, 256                                 // coordOffset0 d0=2 vc0=0
_v_add_co_u32 v4, vcc, v0, s56                     // coord0.2: coord0 += d0*sg0*VW + vc0
v_cmp_lt_u32 s[56:57], v4, s[sgprSizeI]            // coord0 < size0
v_cmp_lt_u32 s[60:61], v1, s[sgprSizeJ]            // coord1 < size1
s_and_b64 s[60:61], s[56:57], s[60:61]             // in0 && in1
_v_add_lshl_u32 v24, v2, v4, 0x3                   // scaleToBpe: accumulate d0 lower and *= bpe into Cin addr
v_cndmask_b32 v24, -1, v24, s[60:61]               // LDC clip if OOB. offset
_buffer_load_b128 v[28:31], v24, s[sgprSrdC:sgprSrdC+3], 0, offen offset:0 // load C for beta calc
_v_add_lshl_u32 v24, v3, v4, 0x3                   // scaleToBpe: accumulate d0 lower and *= bpe into Cin addr
v_cndmask_b32 v24, -1, v24, s[60:61]               // LDD clip if OOB. offset
/* (d1,vc1,d0,vc0)=(0,0,3,0) */
s_mov_b32 s56, 384                                 // coordOffset0 d0=3 vc0=0
_v_add_co_u32 v4, vcc, v0, s56                     // coord0.2: coord0 += d0*sg0*VW + vc0
v_cmp_lt_u32 s[56:57], v4, s[sgprSizeI]            // coord0 < size0
v_cmp_lt_u32 s[60:61], v1, s[sgprSizeJ]            // coord1 < size1
s_and_b64 s[60:61], s[56:57], s[60:61]             // in0 && in1
_v_add_lshl_u32 v25, v2, v4, 0x3                   // scaleToBpe: accumulate d0 lower and *= bpe into Cin addr
v_cndmask_b32 v25, -1, v25, s[60:61]               // LDC clip if OOB. offset
_buffer_load_b128 v[36:39], v25, s[sgprSrdC:sgprSrdC+3], 0, offen offset:0 // load C for beta calc
_v_add_lshl_u32 v25, v3, v4, 0x3                   // scaleToBpe: accumulate d0 lower and *= bpe into Cin addr
v_cndmask_b32 v25, -1, v25, s[60:61]               // LDD clip if OOB. offset
/* (d1,vc1,d0,vc0)=(0,0,4,0) */
s_mov_b32 s56, 512                                 // coordOffset0 d0=4 vc0=0
_v_add_co_u32 v4, vcc, v0, s56                     // coord0.2: coord0 += d0*sg0*VW + vc0
v_cmp_lt_u32 s[56:57], v4, s[sgprSizeI]            // coord0 < size0
v_cmp_lt_u32 s[60:61], v1, s[sgprSizeJ]            // coord1 < size1
s_and_b64 s[60:61], s[56:57], s[60:61]             // in0 && in1
_v_add_lshl_u32 v26, v2, v4, 0x3                   // scaleToBpe: accumulate d0 lower and *= bpe into Cin addr
v_cndmask_b32 v26, -1, v26, s[60:61]               // LDC clip if OOB. offset
_buffer_load_b128 v[44:47], v26, s[sgprSrdC:sgprSrdC+3], 0, offen offset:0 // load C for beta calc
_v_add_lshl_u32 v26, v3, v4, 0x3                   // scaleToBpe: accumulate d0 lower and *= bpe into Cin addr
v_cndmask_b32 v26, -1, v26, s[60:61]               // LDD clip if OOB. offset
/* (d1,vc1,d0,vc0)=(0,0,5,0) */
s_mov_b32 s56, 640                                 // coordOffset0 d0=5 vc0=0
_v_add_co_u32 v4, vcc, v0, s56                     // coord0.2: coord0 += d0*sg0*VW + vc0
v_cmp_lt_u32 s[56:57], v4, s[sgprSizeI]            // coord0 < size0
v_cmp_lt_u32 s[60:61], v1, s[sgprSizeJ]            // coord1 < size1
s_and_b64 s[60:61], s[56:57], s[60:61]             // in0 && in1
_v_add_lshl_u32 v27, v2, v4, 0x3                   // scaleToBpe: accumulate d0 lower and *= bpe into Cin addr
v_cndmask_b32 v27, -1, v27, s[60:61]               // LDC clip if OOB. offset
_buffer_load_b128 v[52:55], v27, s[sgprSrdC:sgprSrdC+3], 0, offen offset:0 // load C for beta calc
_v_add_lshl_u32 v27, v3, v4, 0x3                   // scaleToBpe: accumulate d0 lower and *= bpe into Cin addr
v_cndmask_b32 v27, -1, v27, s[60:61]               // LDD clip if OOB. offset
/* (d1,vc1,d0,vc0)=(0,0,6,0) */
s_mov_b32 s56, 768                                 // coordOffset0 d0=6 vc0=0
_v_add_co_u32 v4, vcc, v0, s56                     // coord0.2: coord0 += d0*sg0*VW + vc0
v_cmp_lt_u32 s[56:57], v4, s[sgprSizeI]            // coord0 < size0
v_cmp_lt_u32 s[60:61], v1, s[sgprSizeJ]            // coord1 < size1
s_and_b64 s[60:61], s[56:57], s[60:61]             // in0 && in1
_v_add_lshl_u32 v60, v2, v4, 0x3                   // scaleToBpe: accumulate d0 lower and *= bpe into Cin addr
v_cndmask_b32 v60, -1, v60, s[60:61]               // LDC clip if OOB. offset
_buffer_load_b128 v[64:67], v60, s[sgprSrdC:sgprSrdC+3], 0, offen offset:0 // load C for beta calc
_v_add_lshl_u32 v60, v3, v4, 0x3                   // scaleToBpe: accumulate d0 lower and *= bpe into Cin addr
v_cndmask_b32 v60, -1, v60, s[60:61]               // LDD clip if OOB. offset
/* (d1,vc1,d0,vc0)=(0,0,7,0) */
s_mov_b32 s56, 896                                 // coordOffset0 d0=7 vc0=0
_v_add_co_u32 v4, vcc, v0, s56                     // coord0.2: coord0 += d0*sg0*VW + vc0
v_cmp_lt_u32 s[56:57], v4, s[sgprSizeI]            // coord0 < size0
v_cmp_lt_u32 s[60:61], v1, s[sgprSizeJ]            // coord1 < size1
s_and_b64 s[60:61], s[56:57], s[60:61]             // in0 && in1
_v_add_lshl_u32 v61, v2, v4, 0x3                   // scaleToBpe: accumulate d0 lower and *= bpe into Cin addr
v_cndmask_b32 v61, -1, v61, s[60:61]               // LDC clip if OOB. offset
_buffer_load_b128 v[72:75], v61, s[sgprSrdC:sgprSrdC+3], 0, offen offset:0 // load C for beta calc
_v_add_lshl_u32 v61, v3, v4, 0x3                   // scaleToBpe: accumulate d0 lower and *= bpe into Cin addr
v_cndmask_b32 v61, -1, v61, s[60:61]               // LDD clip if OOB. offset
/* (d1,vc1,d0,vc0)=(1,0,0,0) */
_v_add_co_u32 v1, vcc, v1, 4                       // coord1.1: coord1Vgpr += d1*sg1*VW + vc1

/* Fix for UseInitialStridesCD, emitAddressSetupCode */
s_mul_i32 s56, s[sgprStrideC1J], 4                 // scale stride
_v_add_u32 v2, v2, s56                             // ROWINC- Move cinRowPtr to next row
s_mul_i32 s56, s[sgprStrideD1J], 4                 // scale stride
_v_add_u32 v3, v3, s56                             // Move coutRowPtr to next row
v_cmp_lt_u32 s[56:57], v0, s[sgprSizeI]            // coord0 < size0
v_cmp_lt_u32 s[60:61], v1, s[sgprSizeJ]            // coord1 < size1
s_and_b64 s[60:61], s[56:57], s[60:61]             // in0 && in1
_v_add_lshl_u32 v62, v2, v0, 0x3                   // scaleToBpe: accumulate d0 lower and *= bpe into Cin addr
v_cndmask_b32 v62, -1, v62, s[60:61]               // LDC clip if OOB. offset
_buffer_load_b128 v[80:83], v62, s[sgprSrdC:sgprSrdC+3], 0, offen offset:0 // load C for beta calc
_v_add_lshl_u32 v62, v3, v0, 0x3                   // scaleToBpe: accumulate d0 lower and *= bpe into Cin addr
v_cndmask_b32 v62, -1, v62, s[60:61]               // LDD clip if OOB. offset
/* (d1,vc1,d0,vc0)=(1,0,1,0) */
s_mov_b32 s56, 128                                 // coordOffset0 d0=1 vc0=0
_v_add_co_u32 v4, vcc, v0, s56                     // coord0.2: coord0 += d0*sg0*VW + vc0
v_cmp_lt_u32 s[56:57], v4, s[sgprSizeI]            // coord0 < size0
v_cmp_lt_u32 s[60:61], v1, s[sgprSizeJ]            // coord1 < size1
s_and_b64 s[60:61], s[56:57], s[60:61]             // in0 && in1
_v_add_lshl_u32 v63, v2, v4, 0x3                   // scaleToBpe: accumulate d0 lower and *= bpe into Cin addr
v_cndmask_b32 v63, -1, v63, s[60:61]               // LDC clip if OOB. offset
_buffer_load_b128 v[88:91], v63, s[sgprSrdC:sgprSrdC+3], 0, offen offset:0 // load C for beta calc
_v_add_lshl_u32 v63, v3, v4, 0x3                   // scaleToBpe: accumulate d0 lower and *= bpe into Cin addr
v_cndmask_b32 v63, -1, v63, s[60:61]               // LDD clip if OOB. offset
/* (d1,vc1,d0,vc0)=(1,0,2,0) */
s_mov_b32 s56, 256                                 // coordOffset0 d0=2 vc0=0
_v_add_co_u32 v4, vcc, v0, s56                     // coord0.2: coord0 += d0*sg0*VW + vc0
	;; [unrolled: 11-line block ×6, first 2 shown]
v_cmp_lt_u32 s[56:57], v4, s[sgprSizeI]            // coord0 < size0
v_cmp_lt_u32 s[60:61], v1, s[sgprSizeJ]            // coord1 < size1
s_and_b64 s[60:61], s[56:57], s[60:61]             // in0 && in1
_v_add_lshl_u32 v132, v2, v4, 0x3                  // scaleToBpe: accumulate d0 lower and *= bpe into Cin addr
v_cndmask_b32 v132, -1, v132, s[60:61]             // LDC clip if OOB. offset
_buffer_load_b128 v[136:139], v132, s[sgprSrdC:sgprSrdC+3], 0, offen offset:0 // load C for beta calc
_v_add_lshl_u32 v132, v3, v4, 0x3                  // scaleToBpe: accumulate d0 lower and *= bpe into Cin addr
v_cndmask_b32 v132, -1, v132, s[60:61]             // LDD clip if OOB. offset
/* (d1,vc1,d0,vc0)=(1,0,7,0) */
s_mov_b32 s56, 896                                 // coordOffset0 d0=7 vc0=0
_v_add_co_u32 v4, vcc, v0, s56                     // coord0.2: coord0 += d0*sg0*VW + vc0
v_cmp_lt_u32 s[56:57], v4, s[sgprSizeI]            // coord0 < size0
v_cmp_lt_u32 s[60:61], v1, s[sgprSizeJ]            // coord1 < size1
s_and_b64 s[60:61], s[56:57], s[60:61]             // in0 && in1
_v_add_lshl_u32 v133, v2, v4, 0x3                  // scaleToBpe: accumulate d0 lower and *= bpe into Cin addr
v_cndmask_b32 v133, -1, v133, s[60:61]             // LDC clip if OOB. offset
_buffer_load_b128 v[144:147], v133, s[sgprSrdC:sgprSrdC+3], 0, offen offset:0 // load C for beta calc
_v_add_lshl_u32 v133, v3, v4, 0x3                  // scaleToBpe: accumulate d0 lower and *= bpe into Cin addr
v_cndmask_b32 v133, -1, v133, s[60:61]             // LDD clip if OOB. offset
/* (d1,vc1,d0,vc0)=(2,0,0,0) */
_v_add_co_u32 v1, vcc, v1, 4                       // coord1.1: coord1Vgpr += d1*sg1*VW + vc1

/* Fix for UseInitialStridesCD, emitAddressSetupCode */
s_mul_i32 s56, s[sgprStrideC1J], 4                 // scale stride
_v_add_u32 v2, v2, s56                             // ROWINC- Move cinRowPtr to next row
s_mul_i32 s56, s[sgprStrideD1J], 4                 // scale stride
_v_add_u32 v3, v3, s56                             // Move coutRowPtr to next row
v_cmp_lt_u32 s[56:57], v0, s[sgprSizeI]            // coord0 < size0
v_cmp_lt_u32 s[60:61], v1, s[sgprSizeJ]            // coord1 < size1
s_and_b64 s[60:61], s[56:57], s[60:61]             // in0 && in1
_v_add_lshl_u32 v134, v2, v0, 0x3                  // scaleToBpe: accumulate d0 lower and *= bpe into Cin addr
v_cndmask_b32 v134, -1, v134, s[60:61]             // LDC clip if OOB. offset
_buffer_load_b128 v[152:155], v134, s[sgprSrdC:sgprSrdC+3], 0, offen offset:0 // load C for beta calc
_v_add_lshl_u32 v134, v3, v0, 0x3                  // scaleToBpe: accumulate d0 lower and *= bpe into Cin addr
v_cndmask_b32 v134, -1, v134, s[60:61]             // LDD clip if OOB. offset
/* (d1,vc1,d0,vc0)=(2,0,1,0) */
s_mov_b32 s56, 128                                 // coordOffset0 d0=1 vc0=0
_v_add_co_u32 v4, vcc, v0, s56                     // coord0.2: coord0 += d0*sg0*VW + vc0
v_cmp_lt_u32 s[56:57], v4, s[sgprSizeI]            // coord0 < size0
v_cmp_lt_u32 s[60:61], v1, s[sgprSizeJ]            // coord1 < size1
s_and_b64 s[60:61], s[56:57], s[60:61]             // in0 && in1
_v_add_lshl_u32 v135, v2, v4, 0x3                  // scaleToBpe: accumulate d0 lower and *= bpe into Cin addr
v_cndmask_b32 v135, -1, v135, s[60:61]             // LDC clip if OOB. offset
_buffer_load_b128 v[164:167], v135, s[sgprSrdC:sgprSrdC+3], 0, offen offset:0 // load C for beta calc
_v_add_lshl_u32 v135, v3, v4, 0x3                  // scaleToBpe: accumulate d0 lower and *= bpe into Cin addr
v_cndmask_b32 v135, -1, v135, s[60:61]             // LDD clip if OOB. offset
/* (d1,vc1,d0,vc0)=(2,0,2,0) */
s_mov_b32 s56, 256                                 // coordOffset0 d0=2 vc0=0
_v_add_co_u32 v4, vcc, v0, s56                     // coord0.2: coord0 += d0*sg0*VW + vc0
	;; [unrolled: 11-line block ×7, first 2 shown]
v_cmp_lt_u32 s[56:57], v4, s[sgprSizeI]            // coord0 < size0
v_cmp_lt_u32 s[60:61], v1, s[sgprSizeJ]            // coord1 < size1
s_and_b64 s[60:61], s[56:57], s[60:61]             // in0 && in1
_v_add_lshl_u32 v191, v2, v4, 0x3                  // scaleToBpe: accumulate d0 lower and *= bpe into Cin addr
v_cndmask_b32 v191, -1, v191, s[60:61]             // LDC clip if OOB. offset
_buffer_load_b128 v[216:219], v191, s[sgprSrdC:sgprSrdC+3], 0, offen offset:0 // load C for beta calc
_v_add_lshl_u32 v191, v3, v4, 0x3                  // scaleToBpe: accumulate d0 lower and *= bpe into Cin addr
v_cndmask_b32 v191, -1, v191, s[60:61]             // LDD clip if OOB. offset
/* (d1,vc1,d0,vc0)=(3,0,0,0) */
_v_add_co_u32 v1, vcc, v1, 4                       // coord1.1: coord1Vgpr += d1*sg1*VW + vc1

/* Fix for UseInitialStridesCD, emitAddressSetupCode */
s_mul_i32 s56, s[sgprStrideC1J], 4                 // scale stride
_v_add_u32 v2, v2, s56                             // ROWINC- Move cinRowPtr to next row
s_mul_i32 s56, s[sgprStrideD1J], 4                 // scale stride
_v_add_u32 v3, v3, s56                             // Move coutRowPtr to next row
v_cmp_lt_u32 s[56:57], v0, s[sgprSizeI]            // coord0 < size0
v_cmp_lt_u32 s[60:61], v1, s[sgprSizeJ]            // coord1 < size1
s_and_b64 s[60:61], s[56:57], s[60:61]             // in0 && in1
_v_add_lshl_u32 v224, v2, v0, 0x3                  // scaleToBpe: accumulate d0 lower and *= bpe into Cin addr
v_cndmask_b32 v224, -1, v224, s[60:61]             // LDC clip if OOB. offset
_buffer_load_b128 v[228:231], v224, s[sgprSrdC:sgprSrdC+3], 0, offen offset:0 // load C for beta calc
_v_add_lshl_u32 v224, v3, v0, 0x3                  // scaleToBpe: accumulate d0 lower and *= bpe into Cin addr
v_cndmask_b32 v224, -1, v224, s[60:61]             // LDD clip if OOB. offset
/* (d1,vc1,d0,vc0)=(3,0,1,0) */
s_mov_b32 s56, 128                                 // coordOffset0 d0=1 vc0=0
_v_add_co_u32 v4, vcc, v0, s56                     // coord0.2: coord0 += d0*sg0*VW + vc0
v_cmp_lt_u32 s[56:57], v4, s[sgprSizeI]            // coord0 < size0
v_cmp_lt_u32 s[60:61], v1, s[sgprSizeJ]            // coord1 < size1
s_and_b64 s[60:61], s[56:57], s[60:61]             // in0 && in1
_v_add_lshl_u32 v225, v2, v4, 0x3                  // scaleToBpe: accumulate d0 lower and *= bpe into Cin addr
v_cndmask_b32 v225, -1, v225, s[60:61]             // LDC clip if OOB. offset
_buffer_load_b128 v[236:239], v225, s[sgprSrdC:sgprSrdC+3], 0, offen offset:0 // load C for beta calc
_v_add_lshl_u32 v225, v3, v4, 0x3                  // scaleToBpe: accumulate d0 lower and *= bpe into Cin addr
v_cndmask_b32 v225, -1, v225, s[60:61]             // LDD clip if OOB. offset
v_accvgpr_read_b32 v[vgprValuC+12], acc0 // copy acc to vreg[0]
v_accvgpr_read_b32 v[vgprValuC+13], acc1 // copy acc to vreg[1]
v_accvgpr_read_b32 v[vgprValuC+14], acc8 // copy acc to vreg[2]
v_accvgpr_read_b32 v[vgprValuC+15], acc9 // copy acc to vreg[3]
v_accvgpr_read_b32 v[vgprValuC+20], acc16 // copy acc to vreg[4]
v_accvgpr_read_b32 v[vgprValuC+21], acc17 // copy acc to vreg[5]
v_accvgpr_read_b32 v[vgprValuC+22], acc24 // copy acc to vreg[6]
v_accvgpr_read_b32 v[vgprValuC+23], acc25 // copy acc to vreg[7]
v_accvgpr_read_b32 v[vgprValuC+32], acc32 // copy acc to vreg[8]
v_accvgpr_read_b32 v[vgprValuC+33], acc33 // copy acc to vreg[9]
v_accvgpr_read_b32 v[vgprValuC+34], acc40 // copy acc to vreg[10]
v_accvgpr_read_b32 v[vgprValuC+35], acc41 // copy acc to vreg[11]
v_accvgpr_read_b32 v[vgprValuC+40], acc48 // copy acc to vreg[12]
v_accvgpr_read_b32 v[vgprValuC+41], acc49 // copy acc to vreg[13]
v_accvgpr_read_b32 v[vgprValuC+42], acc56 // copy acc to vreg[14]
v_accvgpr_read_b32 v[vgprValuC+43], acc57 // copy acc to vreg[15]
v_accvgpr_read_b32 v[vgprValuC+48], acc64 // copy acc to vreg[16]
v_accvgpr_read_b32 v[vgprValuC+49], acc65 // copy acc to vreg[17]
v_accvgpr_read_b32 v[vgprValuC+50], acc72 // copy acc to vreg[18]
v_accvgpr_read_b32 v[vgprValuC+51], acc73 // copy acc to vreg[19]
v_accvgpr_read_b32 v[vgprValuC+56], acc80 // copy acc to vreg[20]
v_accvgpr_read_b32 v[vgprValuC+57], acc81 // copy acc to vreg[21]
v_accvgpr_read_b32 v[vgprValuC+58], acc88 // copy acc to vreg[22]
v_accvgpr_read_b32 v[vgprValuC+59], acc89 // copy acc to vreg[23]
v_accvgpr_read_b32 v[vgprValuC+68], acc96 // copy acc to vreg[24]
v_accvgpr_read_b32 v[vgprValuC+69], acc97 // copy acc to vreg[25]
v_accvgpr_read_b32 v[vgprValuC+70], acc104 // copy acc to vreg[26]
v_accvgpr_read_b32 v[vgprValuC+71], acc105 // copy acc to vreg[27]
v_accvgpr_read_b32 v[vgprValuC+76], acc112 // copy acc to vreg[28]
v_accvgpr_read_b32 v[vgprValuC+77], acc113 // copy acc to vreg[29]
v_accvgpr_read_b32 v[vgprValuC+78], acc120 // copy acc to vreg[30]
v_accvgpr_read_b32 v[vgprValuC+79], acc121 // copy acc to vreg[31]
v_accvgpr_read_b32 v[vgprValuC+84], acc2 // copy acc to vreg[32]
v_accvgpr_read_b32 v[vgprValuC+85], acc3 // copy acc to vreg[33]
v_accvgpr_read_b32 v[vgprValuC+86], acc10 // copy acc to vreg[34]
v_accvgpr_read_b32 v[vgprValuC+87], acc11 // copy acc to vreg[35]
v_accvgpr_read_b32 v[vgprValuC+92], acc18 // copy acc to vreg[36]
v_accvgpr_read_b32 v[vgprValuC+93], acc19 // copy acc to vreg[37]
v_accvgpr_read_b32 v[vgprValuC+94], acc26 // copy acc to vreg[38]
v_accvgpr_read_b32 v[vgprValuC+95], acc27 // copy acc to vreg[39]
v_accvgpr_read_b32 v[vgprValuC+104], acc34 // copy acc to vreg[40]
v_accvgpr_read_b32 v[vgprValuC+105], acc35 // copy acc to vreg[41]
v_accvgpr_read_b32 v[vgprValuC+106], acc42 // copy acc to vreg[42]
v_accvgpr_read_b32 v[vgprValuC+107], acc43 // copy acc to vreg[43]
v_accvgpr_read_b32 v[vgprValuC+112], acc50 // copy acc to vreg[44]
v_accvgpr_read_b32 v[vgprValuC+113], acc51 // copy acc to vreg[45]
v_accvgpr_read_b32 v[vgprValuC+114], acc58 // copy acc to vreg[46]
v_accvgpr_read_b32 v[vgprValuC+115], acc59 // copy acc to vreg[47]
v_accvgpr_read_b32 v[vgprValuC+120], acc66 // copy acc to vreg[48]
v_accvgpr_read_b32 v[vgprValuC+121], acc67 // copy acc to vreg[49]
v_accvgpr_read_b32 v[vgprValuC+122], acc74 // copy acc to vreg[50]
v_accvgpr_read_b32 v[vgprValuC+123], acc75 // copy acc to vreg[51]
v_accvgpr_read_b32 v[vgprValuC+128], acc82 // copy acc to vreg[52]
v_accvgpr_read_b32 v[vgprValuC+129], acc83 // copy acc to vreg[53]
v_accvgpr_read_b32 v[vgprValuC+130], acc90 // copy acc to vreg[54]
v_accvgpr_read_b32 v[vgprValuC+131], acc91 // copy acc to vreg[55]
v_accvgpr_read_b32 v[vgprValuC+140], acc98 // copy acc to vreg[56]
v_accvgpr_read_b32 v[vgprValuC+141], acc99 // copy acc to vreg[57]
v_accvgpr_read_b32 v[vgprValuC+142], acc106 // copy acc to vreg[58]
v_accvgpr_read_b32 v[vgprValuC+143], acc107 // copy acc to vreg[59]
v_accvgpr_read_b32 v[vgprValuC+148], acc114 // copy acc to vreg[60]
v_accvgpr_read_b32 v[vgprValuC+149], acc115 // copy acc to vreg[61]
v_accvgpr_read_b32 v[vgprValuC+150], acc122 // copy acc to vreg[62]
v_accvgpr_read_b32 v[vgprValuC+151], acc123 // copy acc to vreg[63]
v_accvgpr_read_b32 v[vgprValuC+160], acc4 // copy acc to vreg[64]
v_accvgpr_read_b32 v[vgprValuC+161], acc5 // copy acc to vreg[65]
v_accvgpr_read_b32 v[vgprValuC+162], acc12 // copy acc to vreg[66]
v_accvgpr_read_b32 v[vgprValuC+163], acc13 // copy acc to vreg[67]
v_accvgpr_read_b32 v[vgprValuC+168], acc20 // copy acc to vreg[68]
v_accvgpr_read_b32 v[vgprValuC+169], acc21 // copy acc to vreg[69]
v_accvgpr_read_b32 v[vgprValuC+170], acc28 // copy acc to vreg[70]
v_accvgpr_read_b32 v[vgprValuC+171], acc29 // copy acc to vreg[71]
v_accvgpr_read_b32 v[vgprValuC+176], acc36 // copy acc to vreg[72]
v_accvgpr_read_b32 v[vgprValuC+177], acc37 // copy acc to vreg[73]
v_accvgpr_read_b32 v[vgprValuC+178], acc44 // copy acc to vreg[74]
v_accvgpr_read_b32 v[vgprValuC+179], acc45 // copy acc to vreg[75]
v_accvgpr_read_b32 v[vgprValuC+184], acc52 // copy acc to vreg[76]
v_accvgpr_read_b32 v[vgprValuC+185], acc53 // copy acc to vreg[77]
v_accvgpr_read_b32 v[vgprValuC+186], acc60 // copy acc to vreg[78]
v_accvgpr_read_b32 v[vgprValuC+187], acc61 // copy acc to vreg[79]
v_accvgpr_read_b32 v[vgprValuC+196], acc68 // copy acc to vreg[80]
v_accvgpr_read_b32 v[vgprValuC+197], acc69 // copy acc to vreg[81]
v_accvgpr_read_b32 v[vgprValuC+198], acc76 // copy acc to vreg[82]
v_accvgpr_read_b32 v[vgprValuC+199], acc77 // copy acc to vreg[83]
v_accvgpr_read_b32 v[vgprValuC+204], acc84 // copy acc to vreg[84]
v_accvgpr_read_b32 v[vgprValuC+205], acc85 // copy acc to vreg[85]
v_accvgpr_read_b32 v[vgprValuC+206], acc92 // copy acc to vreg[86]
v_accvgpr_read_b32 v[vgprValuC+207], acc93 // copy acc to vreg[87]
v_accvgpr_read_b32 v[vgprValuC+212], acc100 // copy acc to vreg[88]
v_accvgpr_read_b32 v[vgprValuC+213], acc101 // copy acc to vreg[89]
v_accvgpr_read_b32 v[vgprValuC+214], acc108 // copy acc to vreg[90]
v_accvgpr_read_b32 v[vgprValuC+215], acc109 // copy acc to vreg[91]
v_accvgpr_read_b32 v[vgprValuC+220], acc116 // copy acc to vreg[92]
v_accvgpr_read_b32 v[vgprValuC+221], acc117 // copy acc to vreg[93]
v_accvgpr_read_b32 v[vgprValuC+222], acc124 // copy acc to vreg[94]
v_accvgpr_read_b32 v[vgprValuC+223], acc125 // copy acc to vreg[95]
v_accvgpr_read_b32 v[vgprValuC+232], acc6 // copy acc to vreg[96]
v_accvgpr_read_b32 v[vgprValuC+233], acc7 // copy acc to vreg[97]
v_accvgpr_read_b32 v[vgprValuC+234], acc14 // copy acc to vreg[98]
v_accvgpr_read_b32 v[vgprValuC+235], acc15 // copy acc to vreg[99]
v_accvgpr_read_b32 v[vgprValuC+240], acc22 // copy acc to vreg[100]
v_accvgpr_read_b32 v[vgprValuC+241], acc23 // copy acc to vreg[101]
v_accvgpr_read_b32 v[vgprValuC+242], acc30 // copy acc to vreg[102]
v_accvgpr_read_b32 v[vgprValuC+243], acc31 // copy acc to vreg[103]
s_nop 1                                            // 2 wait states required before reading vgpr

/* rC *= alpha batchElements=[(0, 0, 0, 0), (0, 1, 0, 0), (0, 2, 0, 0), (0, 3, 0, 0), (0, 4, 0, 0), (0, 5, 0, 0), (0, 6, 0, 0), (0, 7, 0, 0), (1, 0, 0, 0), (1, 1, 0, 0), (1, 2, 0, 0), (1, 3, 0, 0), (1, 4, 0, 0), (1, 5, 0, 0), (1, 6, 0, 0), (1, 7, 0, 0), (2, 0, 0, 0), (2, 1, 0, 0), (2, 2, 0, 0), (2, 3, 0, 0), (2, 4, 0, 0), (2, 5, 0, 0), (2, 6, 0, 0), (2, 7, 0, 0), (3, 0, 0, 0), (3, 1, 0, 0)] */
v_mul_f64 v[vgprValuC+12:vgprValuC+12+1], s[sgprAlpha:sgprAlpha+1], v[vgprValuC+12:vgprValuC+12+1] // *= alpha
v_mul_f64 v[vgprValuC+14:vgprValuC+14+1], s[sgprAlpha:sgprAlpha+1], v[vgprValuC+14:vgprValuC+14+1] // *= alpha
	;; [unrolled: 1-line block ×52, first 2 shown]
s_waitcnt vmcnt(0)                                 // wait C

/* apply mask, calc new C and issue writes */
v_fma_f64 v[vgprValuC+12:vgprValuC+12+1], v[8:9], s[sgprBeta:sgprBeta+1], v[vgprValuC+12:vgprValuC+12+1] // finalSum = sum*alpha + C*beta
v_fma_f64 v[vgprValuC+14:vgprValuC+14+1], v[10:11], s[sgprBeta:sgprBeta+1], v[vgprValuC+14:vgprValuC+14+1] // finalSum = sum*alpha + C*beta
_buffer_store_b128 v[12:15], v6, s[sgprSrdD:sgprSrdD+3], 0, offen, offset:0 // store D
v_fma_f64 v[vgprValuC+20:vgprValuC+20+1], v[16:17], s[sgprBeta:sgprBeta+1], v[vgprValuC+20:vgprValuC+20+1] // finalSum = sum*alpha + C*beta
v_fma_f64 v[vgprValuC+22:vgprValuC+22+1], v[18:19], s[sgprBeta:sgprBeta+1], v[vgprValuC+22:vgprValuC+22+1] // finalSum = sum*alpha + C*beta
_buffer_store_b128 v[20:23], v7, s[sgprSrdD:sgprSrdD+3], 0, offen, offset:0 // store D
v_fma_f64 v[vgprValuC+32:vgprValuC+32+1], v[28:29], s[sgprBeta:sgprBeta+1], v[vgprValuC+32:vgprValuC+32+1] // finalSum = sum*alpha + C*beta
v_fma_f64 v[vgprValuC+34:vgprValuC+34+1], v[30:31], s[sgprBeta:sgprBeta+1], v[vgprValuC+34:vgprValuC+34+1] // finalSum = sum*alpha + C*beta
_buffer_store_b128 v[32:35], v24, s[sgprSrdD:sgprSrdD+3], 0, offen, offset:0 // store D
v_fma_f64 v[vgprValuC+40:vgprValuC+40+1], v[36:37], s[sgprBeta:sgprBeta+1], v[vgprValuC+40:vgprValuC+40+1] // finalSum = sum*alpha + C*beta
v_fma_f64 v[vgprValuC+42:vgprValuC+42+1], v[38:39], s[sgprBeta:sgprBeta+1], v[vgprValuC+42:vgprValuC+42+1] // finalSum = sum*alpha + C*beta
_buffer_store_b128 v[40:43], v25, s[sgprSrdD:sgprSrdD+3], 0, offen, offset:0 // store D
v_fma_f64 v[vgprValuC+48:vgprValuC+48+1], v[44:45], s[sgprBeta:sgprBeta+1], v[vgprValuC+48:vgprValuC+48+1] // finalSum = sum*alpha + C*beta
v_fma_f64 v[vgprValuC+50:vgprValuC+50+1], v[46:47], s[sgprBeta:sgprBeta+1], v[vgprValuC+50:vgprValuC+50+1] // finalSum = sum*alpha + C*beta
_buffer_store_b128 v[48:51], v26, s[sgprSrdD:sgprSrdD+3], 0, offen, offset:0 // store D
v_fma_f64 v[vgprValuC+56:vgprValuC+56+1], v[52:53], s[sgprBeta:sgprBeta+1], v[vgprValuC+56:vgprValuC+56+1] // finalSum = sum*alpha + C*beta
v_fma_f64 v[vgprValuC+58:vgprValuC+58+1], v[54:55], s[sgprBeta:sgprBeta+1], v[vgprValuC+58:vgprValuC+58+1] // finalSum = sum*alpha + C*beta
_buffer_store_b128 v[56:59], v27, s[sgprSrdD:sgprSrdD+3], 0, offen, offset:0 // store D
v_fma_f64 v[vgprValuC+68:vgprValuC+68+1], v[64:65], s[sgprBeta:sgprBeta+1], v[vgprValuC+68:vgprValuC+68+1] // finalSum = sum*alpha + C*beta
v_fma_f64 v[vgprValuC+70:vgprValuC+70+1], v[66:67], s[sgprBeta:sgprBeta+1], v[vgprValuC+70:vgprValuC+70+1] // finalSum = sum*alpha + C*beta
_buffer_store_b128 v[68:71], v60, s[sgprSrdD:sgprSrdD+3], 0, offen, offset:0 // store D
v_fma_f64 v[vgprValuC+76:vgprValuC+76+1], v[72:73], s[sgprBeta:sgprBeta+1], v[vgprValuC+76:vgprValuC+76+1] // finalSum = sum*alpha + C*beta
v_fma_f64 v[vgprValuC+78:vgprValuC+78+1], v[74:75], s[sgprBeta:sgprBeta+1], v[vgprValuC+78:vgprValuC+78+1] // finalSum = sum*alpha + C*beta
_buffer_store_b128 v[76:79], v61, s[sgprSrdD:sgprSrdD+3], 0, offen, offset:0 // store D
v_fma_f64 v[vgprValuC+84:vgprValuC+84+1], v[80:81], s[sgprBeta:sgprBeta+1], v[vgprValuC+84:vgprValuC+84+1] // finalSum = sum*alpha + C*beta
v_fma_f64 v[vgprValuC+86:vgprValuC+86+1], v[82:83], s[sgprBeta:sgprBeta+1], v[vgprValuC+86:vgprValuC+86+1] // finalSum = sum*alpha + C*beta
_buffer_store_b128 v[84:87], v62, s[sgprSrdD:sgprSrdD+3], 0, offen, offset:0 // store D
v_fma_f64 v[vgprValuC+92:vgprValuC+92+1], v[88:89], s[sgprBeta:sgprBeta+1], v[vgprValuC+92:vgprValuC+92+1] // finalSum = sum*alpha + C*beta
v_fma_f64 v[vgprValuC+94:vgprValuC+94+1], v[90:91], s[sgprBeta:sgprBeta+1], v[vgprValuC+94:vgprValuC+94+1] // finalSum = sum*alpha + C*beta
_buffer_store_b128 v[92:95], v63, s[sgprSrdD:sgprSrdD+3], 0, offen, offset:0 // store D
v_fma_f64 v[vgprValuC+104:vgprValuC+104+1], v[100:101], s[sgprBeta:sgprBeta+1], v[vgprValuC+104:vgprValuC+104+1] // finalSum = sum*alpha + C*beta
v_fma_f64 v[vgprValuC+106:vgprValuC+106+1], v[102:103], s[sgprBeta:sgprBeta+1], v[vgprValuC+106:vgprValuC+106+1] // finalSum = sum*alpha + C*beta
_buffer_store_b128 v[104:107], v96, s[sgprSrdD:sgprSrdD+3], 0, offen, offset:0 // store D
v_fma_f64 v[vgprValuC+112:vgprValuC+112+1], v[108:109], s[sgprBeta:sgprBeta+1], v[vgprValuC+112:vgprValuC+112+1] // finalSum = sum*alpha + C*beta
v_fma_f64 v[vgprValuC+114:vgprValuC+114+1], v[110:111], s[sgprBeta:sgprBeta+1], v[vgprValuC+114:vgprValuC+114+1] // finalSum = sum*alpha + C*beta
_buffer_store_b128 v[112:115], v97, s[sgprSrdD:sgprSrdD+3], 0, offen, offset:0 // store D
v_fma_f64 v[vgprValuC+120:vgprValuC+120+1], v[116:117], s[sgprBeta:sgprBeta+1], v[vgprValuC+120:vgprValuC+120+1] // finalSum = sum*alpha + C*beta
v_fma_f64 v[vgprValuC+122:vgprValuC+122+1], v[118:119], s[sgprBeta:sgprBeta+1], v[vgprValuC+122:vgprValuC+122+1] // finalSum = sum*alpha + C*beta
_buffer_store_b128 v[120:123], v98, s[sgprSrdD:sgprSrdD+3], 0, offen, offset:0 // store D
v_fma_f64 v[vgprValuC+128:vgprValuC+128+1], v[124:125], s[sgprBeta:sgprBeta+1], v[vgprValuC+128:vgprValuC+128+1] // finalSum = sum*alpha + C*beta
v_fma_f64 v[vgprValuC+130:vgprValuC+130+1], v[126:127], s[sgprBeta:sgprBeta+1], v[vgprValuC+130:vgprValuC+130+1] // finalSum = sum*alpha + C*beta
_buffer_store_b128 v[128:131], v99, s[sgprSrdD:sgprSrdD+3], 0, offen, offset:0 // store D
v_fma_f64 v[vgprValuC+140:vgprValuC+140+1], v[136:137], s[sgprBeta:sgprBeta+1], v[vgprValuC+140:vgprValuC+140+1] // finalSum = sum*alpha + C*beta
v_fma_f64 v[vgprValuC+142:vgprValuC+142+1], v[138:139], s[sgprBeta:sgprBeta+1], v[vgprValuC+142:vgprValuC+142+1] // finalSum = sum*alpha + C*beta
_buffer_store_b128 v[140:143], v132, s[sgprSrdD:sgprSrdD+3], 0, offen, offset:0 // store D
v_fma_f64 v[vgprValuC+148:vgprValuC+148+1], v[144:145], s[sgprBeta:sgprBeta+1], v[vgprValuC+148:vgprValuC+148+1] // finalSum = sum*alpha + C*beta
v_fma_f64 v[vgprValuC+150:vgprValuC+150+1], v[146:147], s[sgprBeta:sgprBeta+1], v[vgprValuC+150:vgprValuC+150+1] // finalSum = sum*alpha + C*beta
_buffer_store_b128 v[148:151], v133, s[sgprSrdD:sgprSrdD+3], 0, offen, offset:0 // store D
v_fma_f64 v[vgprValuC+160:vgprValuC+160+1], v[152:153], s[sgprBeta:sgprBeta+1], v[vgprValuC+160:vgprValuC+160+1] // finalSum = sum*alpha + C*beta
v_fma_f64 v[vgprValuC+162:vgprValuC+162+1], v[154:155], s[sgprBeta:sgprBeta+1], v[vgprValuC+162:vgprValuC+162+1] // finalSum = sum*alpha + C*beta
_buffer_store_b128 v[160:163], v134, s[sgprSrdD:sgprSrdD+3], 0, offen, offset:0 // store D
v_fma_f64 v[vgprValuC+168:vgprValuC+168+1], v[164:165], s[sgprBeta:sgprBeta+1], v[vgprValuC+168:vgprValuC+168+1] // finalSum = sum*alpha + C*beta
v_fma_f64 v[vgprValuC+170:vgprValuC+170+1], v[166:167], s[sgprBeta:sgprBeta+1], v[vgprValuC+170:vgprValuC+170+1] // finalSum = sum*alpha + C*beta
_buffer_store_b128 v[168:171], v135, s[sgprSrdD:sgprSrdD+3], 0, offen, offset:0 // store D
v_fma_f64 v[vgprValuC+176:vgprValuC+176+1], v[172:173], s[sgprBeta:sgprBeta+1], v[vgprValuC+176:vgprValuC+176+1] // finalSum = sum*alpha + C*beta
v_fma_f64 v[vgprValuC+178:vgprValuC+178+1], v[174:175], s[sgprBeta:sgprBeta+1], v[vgprValuC+178:vgprValuC+178+1] // finalSum = sum*alpha + C*beta
_buffer_store_b128 v[176:179], v158, s[sgprSrdD:sgprSrdD+3], 0, offen, offset:0 // store D
v_fma_f64 v[vgprValuC+184:vgprValuC+184+1], v[180:181], s[sgprBeta:sgprBeta+1], v[vgprValuC+184:vgprValuC+184+1] // finalSum = sum*alpha + C*beta
v_fma_f64 v[vgprValuC+186:vgprValuC+186+1], v[182:183], s[sgprBeta:sgprBeta+1], v[vgprValuC+186:vgprValuC+186+1] // finalSum = sum*alpha + C*beta
_buffer_store_b128 v[184:187], v159, s[sgprSrdD:sgprSrdD+3], 0, offen, offset:0 // store D
v_fma_f64 v[vgprValuC+196:vgprValuC+196+1], v[192:193], s[sgprBeta:sgprBeta+1], v[vgprValuC+196:vgprValuC+196+1] // finalSum = sum*alpha + C*beta
v_fma_f64 v[vgprValuC+198:vgprValuC+198+1], v[194:195], s[sgprBeta:sgprBeta+1], v[vgprValuC+198:vgprValuC+198+1] // finalSum = sum*alpha + C*beta
_buffer_store_b128 v[196:199], v188, s[sgprSrdD:sgprSrdD+3], 0, offen, offset:0 // store D
v_fma_f64 v[vgprValuC+204:vgprValuC+204+1], v[200:201], s[sgprBeta:sgprBeta+1], v[vgprValuC+204:vgprValuC+204+1] // finalSum = sum*alpha + C*beta
v_fma_f64 v[vgprValuC+206:vgprValuC+206+1], v[202:203], s[sgprBeta:sgprBeta+1], v[vgprValuC+206:vgprValuC+206+1] // finalSum = sum*alpha + C*beta
_buffer_store_b128 v[204:207], v189, s[sgprSrdD:sgprSrdD+3], 0, offen, offset:0 // store D
v_fma_f64 v[vgprValuC+212:vgprValuC+212+1], v[208:209], s[sgprBeta:sgprBeta+1], v[vgprValuC+212:vgprValuC+212+1] // finalSum = sum*alpha + C*beta
v_fma_f64 v[vgprValuC+214:vgprValuC+214+1], v[210:211], s[sgprBeta:sgprBeta+1], v[vgprValuC+214:vgprValuC+214+1] // finalSum = sum*alpha + C*beta
_buffer_store_b128 v[212:215], v190, s[sgprSrdD:sgprSrdD+3], 0, offen, offset:0 // store D
v_fma_f64 v[vgprValuC+220:vgprValuC+220+1], v[216:217], s[sgprBeta:sgprBeta+1], v[vgprValuC+220:vgprValuC+220+1] // finalSum = sum*alpha + C*beta
v_fma_f64 v[vgprValuC+222:vgprValuC+222+1], v[218:219], s[sgprBeta:sgprBeta+1], v[vgprValuC+222:vgprValuC+222+1] // finalSum = sum*alpha + C*beta
_buffer_store_b128 v[220:223], v191, s[sgprSrdD:sgprSrdD+3], 0, offen, offset:0 // store D
v_fma_f64 v[vgprValuC+232:vgprValuC+232+1], v[228:229], s[sgprBeta:sgprBeta+1], v[vgprValuC+232:vgprValuC+232+1] // finalSum = sum*alpha + C*beta
v_fma_f64 v[vgprValuC+234:vgprValuC+234+1], v[230:231], s[sgprBeta:sgprBeta+1], v[vgprValuC+234:vgprValuC+234+1] // finalSum = sum*alpha + C*beta
_buffer_store_b128 v[232:235], v224, s[sgprSrdD:sgprSrdD+3], 0, offen, offset:0 // store D
v_fma_f64 v[vgprValuC+240:vgprValuC+240+1], v[236:237], s[sgprBeta:sgprBeta+1], v[vgprValuC+240:vgprValuC+240+1] // finalSum = sum*alpha + C*beta
v_fma_f64 v[vgprValuC+242:vgprValuC+242+1], v[238:239], s[sgprBeta:sgprBeta+1], v[vgprValuC+242:vgprValuC+242+1] // finalSum = sum*alpha + C*beta
_buffer_store_b128 v[240:243], v225, s[sgprSrdD:sgprSrdD+3], 0, offen, offset:0 // store D
s_nop 0                                            // 1 wait state required when next inst writes vgprs held by previous dwordx4 store inst
/* optSingleColVgpr=0 optSharedColVgpr=0 optSGPRUsage=BufferLoad_Edge_Mask optSrdIncForRow=0 */

/******************************************/
/* Global Write Alpha Beta Edge Batch #1 (d1,d0,vc1,vc0) = */
/*    (3,2,0,0:vw2); (3,3,0,0:vw2); (3,4,0,0:vw2); (3,5,0,0:vw2); (3,6,0,0:vw2); (3,7,0,0:vw2); (4,0,0,0:vw2); (4,1,0,0:vw2); (4,2,0,0:vw2); (4,3,0,0:vw2); (4,4,0,0:vw2); (4,5,0,0:vw2); (4,6,0,0:vw2); (4,7,0,0:vw2); (5,0,0,0:vw2); (5,1,0,0:vw2); (5,2,0,0:vw2); (5,3,0,0:vw2); (5,4,0,0:vw2); (5,5,0,0:vw2); (5,6,0,0:vw2); (5,7,0,0:vw2); (6,0,0,0:vw2); (6,1,0,0:vw2); (6,2,0,0:vw2); (6,3,0,0:vw2) */
/******************************************/

/* calc coords, apply mask, and issue loads (if necessary) */
/* (d1,vc1,d0,vc0)=(3,0,2,0) */
s_mov_b32 s56, 256                                 // coordOffset0 d0=2 vc0=0
_v_add_co_u32 v4, vcc, v0, s56                     // coord0.2: coord0 += d0*sg0*VW + vc0
v_cmp_lt_u32 s[56:57], v4, s[sgprSizeI]            // coord0 < size0
v_cmp_lt_u32 s[60:61], v1, s[sgprSizeJ]            // coord1 < size1
s_and_b64 s[60:61], s[56:57], s[60:61]             // in0 && in1
_v_add_lshl_u32 v6, v2, v4, 0x3                    // scaleToBpe: accumulate d0 lower and *= bpe into Cin addr
v_cndmask_b32 v6, -1, v6, s[60:61]                 // LDC clip if OOB. offset
_buffer_load_b128 v[8:11], v6, s[sgprSrdC:sgprSrdC+3], 0, offen offset:0 // load C for beta calc
_v_add_lshl_u32 v6, v3, v4, 0x3                    // scaleToBpe: accumulate d0 lower and *= bpe into Cin addr
v_cndmask_b32 v6, -1, v6, s[60:61]                 // LDD clip if OOB. offset
/* (d1,vc1,d0,vc0)=(3,0,3,0) */
s_mov_b32 s56, 384                                 // coordOffset0 d0=3 vc0=0
_v_add_co_u32 v4, vcc, v0, s56                     // coord0.2: coord0 += d0*sg0*VW + vc0
v_cmp_lt_u32 s[56:57], v4, s[sgprSizeI]            // coord0 < size0
v_cmp_lt_u32 s[60:61], v1, s[sgprSizeJ]            // coord1 < size1
s_and_b64 s[60:61], s[56:57], s[60:61]             // in0 && in1
_v_add_lshl_u32 v7, v2, v4, 0x3                    // scaleToBpe: accumulate d0 lower and *= bpe into Cin addr
v_cndmask_b32 v7, -1, v7, s[60:61]                 // LDC clip if OOB. offset
_buffer_load_b128 v[16:19], v7, s[sgprSrdC:sgprSrdC+3], 0, offen offset:0 // load C for beta calc
_v_add_lshl_u32 v7, v3, v4, 0x3                    // scaleToBpe: accumulate d0 lower and *= bpe into Cin addr
v_cndmask_b32 v7, -1, v7, s[60:61]                 // LDD clip if OOB. offset
/* (d1,vc1,d0,vc0)=(3,0,4,0) */
s_mov_b32 s56, 512                                 // coordOffset0 d0=4 vc0=0
_v_add_co_u32 v4, vcc, v0, s56                     // coord0.2: coord0 += d0*sg0*VW + vc0
v_cmp_lt_u32 s[56:57], v4, s[sgprSizeI]            // coord0 < size0
v_cmp_lt_u32 s[60:61], v1, s[sgprSizeJ]            // coord1 < size1
s_and_b64 s[60:61], s[56:57], s[60:61]             // in0 && in1
_v_add_lshl_u32 v24, v2, v4, 0x3                   // scaleToBpe: accumulate d0 lower and *= bpe into Cin addr
v_cndmask_b32 v24, -1, v24, s[60:61]               // LDC clip if OOB. offset
_buffer_load_b128 v[28:31], v24, s[sgprSrdC:sgprSrdC+3], 0, offen offset:0 // load C for beta calc
_v_add_lshl_u32 v24, v3, v4, 0x3                   // scaleToBpe: accumulate d0 lower and *= bpe into Cin addr
v_cndmask_b32 v24, -1, v24, s[60:61]               // LDD clip if OOB. offset
/* (d1,vc1,d0,vc0)=(3,0,5,0) */
s_mov_b32 s56, 640                                 // coordOffset0 d0=5 vc0=0
_v_add_co_u32 v4, vcc, v0, s56                     // coord0.2: coord0 += d0*sg0*VW + vc0
v_cmp_lt_u32 s[56:57], v4, s[sgprSizeI]            // coord0 < size0
v_cmp_lt_u32 s[60:61], v1, s[sgprSizeJ]            // coord1 < size1
s_and_b64 s[60:61], s[56:57], s[60:61]             // in0 && in1
_v_add_lshl_u32 v25, v2, v4, 0x3                   // scaleToBpe: accumulate d0 lower and *= bpe into Cin addr
v_cndmask_b32 v25, -1, v25, s[60:61]               // LDC clip if OOB. offset
_buffer_load_b128 v[36:39], v25, s[sgprSrdC:sgprSrdC+3], 0, offen offset:0 // load C for beta calc
_v_add_lshl_u32 v25, v3, v4, 0x3                   // scaleToBpe: accumulate d0 lower and *= bpe into Cin addr
v_cndmask_b32 v25, -1, v25, s[60:61]               // LDD clip if OOB. offset
	;; [unrolled: 11-line block ×4, first 2 shown]
/* (d1,vc1,d0,vc0)=(4,0,0,0) */
_v_add_co_u32 v1, vcc, v1, 4                       // coord1.1: coord1Vgpr += d1*sg1*VW + vc1

/* Fix for UseInitialStridesCD, emitAddressSetupCode */
s_mul_i32 s56, s[sgprStrideC1J], 4                 // scale stride
_v_add_u32 v2, v2, s56                             // ROWINC- Move cinRowPtr to next row
s_mul_i32 s56, s[sgprStrideD1J], 4                 // scale stride
_v_add_u32 v3, v3, s56                             // Move coutRowPtr to next row
v_cmp_lt_u32 s[56:57], v0, s[sgprSizeI]            // coord0 < size0
v_cmp_lt_u32 s[60:61], v1, s[sgprSizeJ]            // coord1 < size1
s_and_b64 s[60:61], s[56:57], s[60:61]             // in0 && in1
_v_add_lshl_u32 v60, v2, v0, 0x3                   // scaleToBpe: accumulate d0 lower and *= bpe into Cin addr
v_cndmask_b32 v60, -1, v60, s[60:61]               // LDC clip if OOB. offset
_buffer_load_b128 v[64:67], v60, s[sgprSrdC:sgprSrdC+3], 0, offen offset:0 // load C for beta calc
_v_add_lshl_u32 v60, v3, v0, 0x3                   // scaleToBpe: accumulate d0 lower and *= bpe into Cin addr
v_cndmask_b32 v60, -1, v60, s[60:61]               // LDD clip if OOB. offset
/* (d1,vc1,d0,vc0)=(4,0,1,0) */
s_mov_b32 s56, 128                                 // coordOffset0 d0=1 vc0=0
_v_add_co_u32 v4, vcc, v0, s56                     // coord0.2: coord0 += d0*sg0*VW + vc0
v_cmp_lt_u32 s[56:57], v4, s[sgprSizeI]            // coord0 < size0
v_cmp_lt_u32 s[60:61], v1, s[sgprSizeJ]            // coord1 < size1
s_and_b64 s[60:61], s[56:57], s[60:61]             // in0 && in1
_v_add_lshl_u32 v61, v2, v4, 0x3                   // scaleToBpe: accumulate d0 lower and *= bpe into Cin addr
v_cndmask_b32 v61, -1, v61, s[60:61]               // LDC clip if OOB. offset
_buffer_load_b128 v[72:75], v61, s[sgprSrdC:sgprSrdC+3], 0, offen offset:0 // load C for beta calc
_v_add_lshl_u32 v61, v3, v4, 0x3                   // scaleToBpe: accumulate d0 lower and *= bpe into Cin addr
v_cndmask_b32 v61, -1, v61, s[60:61]               // LDD clip if OOB. offset
/* (d1,vc1,d0,vc0)=(4,0,2,0) */
s_mov_b32 s56, 256                                 // coordOffset0 d0=2 vc0=0
_v_add_co_u32 v4, vcc, v0, s56                     // coord0.2: coord0 += d0*sg0*VW + vc0
	;; [unrolled: 11-line block ×7, first 2 shown]
v_cmp_lt_u32 s[56:57], v4, s[sgprSizeI]            // coord0 < size0
v_cmp_lt_u32 s[60:61], v1, s[sgprSizeJ]            // coord1 < size1
s_and_b64 s[60:61], s[56:57], s[60:61]             // in0 && in1
_v_add_lshl_u32 v99, v2, v4, 0x3                   // scaleToBpe: accumulate d0 lower and *= bpe into Cin addr
v_cndmask_b32 v99, -1, v99, s[60:61]               // LDC clip if OOB. offset
_buffer_load_b128 v[124:127], v99, s[sgprSrdC:sgprSrdC+3], 0, offen offset:0 // load C for beta calc
_v_add_lshl_u32 v99, v3, v4, 0x3                   // scaleToBpe: accumulate d0 lower and *= bpe into Cin addr
v_cndmask_b32 v99, -1, v99, s[60:61]               // LDD clip if OOB. offset
/* (d1,vc1,d0,vc0)=(5,0,0,0) */
_v_add_co_u32 v1, vcc, v1, 4                       // coord1.1: coord1Vgpr += d1*sg1*VW + vc1

/* Fix for UseInitialStridesCD, emitAddressSetupCode */
s_mul_i32 s56, s[sgprStrideC1J], 4                 // scale stride
_v_add_u32 v2, v2, s56                             // ROWINC- Move cinRowPtr to next row
s_mul_i32 s56, s[sgprStrideD1J], 4                 // scale stride
_v_add_u32 v3, v3, s56                             // Move coutRowPtr to next row
v_cmp_lt_u32 s[56:57], v0, s[sgprSizeI]            // coord0 < size0
v_cmp_lt_u32 s[60:61], v1, s[sgprSizeJ]            // coord1 < size1
s_and_b64 s[60:61], s[56:57], s[60:61]             // in0 && in1
_v_add_lshl_u32 v132, v2, v0, 0x3                  // scaleToBpe: accumulate d0 lower and *= bpe into Cin addr
v_cndmask_b32 v132, -1, v132, s[60:61]             // LDC clip if OOB. offset
_buffer_load_b128 v[136:139], v132, s[sgprSrdC:sgprSrdC+3], 0, offen offset:0 // load C for beta calc
_v_add_lshl_u32 v132, v3, v0, 0x3                  // scaleToBpe: accumulate d0 lower and *= bpe into Cin addr
v_cndmask_b32 v132, -1, v132, s[60:61]             // LDD clip if OOB. offset
/* (d1,vc1,d0,vc0)=(5,0,1,0) */
s_mov_b32 s56, 128                                 // coordOffset0 d0=1 vc0=0
_v_add_co_u32 v4, vcc, v0, s56                     // coord0.2: coord0 += d0*sg0*VW + vc0
v_cmp_lt_u32 s[56:57], v4, s[sgprSizeI]            // coord0 < size0
v_cmp_lt_u32 s[60:61], v1, s[sgprSizeJ]            // coord1 < size1
s_and_b64 s[60:61], s[56:57], s[60:61]             // in0 && in1
_v_add_lshl_u32 v133, v2, v4, 0x3                  // scaleToBpe: accumulate d0 lower and *= bpe into Cin addr
v_cndmask_b32 v133, -1, v133, s[60:61]             // LDC clip if OOB. offset
_buffer_load_b128 v[144:147], v133, s[sgprSrdC:sgprSrdC+3], 0, offen offset:0 // load C for beta calc
_v_add_lshl_u32 v133, v3, v4, 0x3                  // scaleToBpe: accumulate d0 lower and *= bpe into Cin addr
v_cndmask_b32 v133, -1, v133, s[60:61]             // LDD clip if OOB. offset
/* (d1,vc1,d0,vc0)=(5,0,2,0) */
s_mov_b32 s56, 256                                 // coordOffset0 d0=2 vc0=0
_v_add_co_u32 v4, vcc, v0, s56                     // coord0.2: coord0 += d0*sg0*VW + vc0
	;; [unrolled: 11-line block ×7, first 2 shown]
v_cmp_lt_u32 s[56:57], v4, s[sgprSizeI]            // coord0 < size0
v_cmp_lt_u32 s[60:61], v1, s[sgprSizeJ]            // coord1 < size1
s_and_b64 s[60:61], s[56:57], s[60:61]             // in0 && in1
_v_add_lshl_u32 v189, v2, v4, 0x3                  // scaleToBpe: accumulate d0 lower and *= bpe into Cin addr
v_cndmask_b32 v189, -1, v189, s[60:61]             // LDC clip if OOB. offset
_buffer_load_b128 v[200:203], v189, s[sgprSrdC:sgprSrdC+3], 0, offen offset:0 // load C for beta calc
_v_add_lshl_u32 v189, v3, v4, 0x3                  // scaleToBpe: accumulate d0 lower and *= bpe into Cin addr
v_cndmask_b32 v189, -1, v189, s[60:61]             // LDD clip if OOB. offset
/* (d1,vc1,d0,vc0)=(6,0,0,0) */
_v_add_co_u32 v1, vcc, v1, 4                       // coord1.1: coord1Vgpr += d1*sg1*VW + vc1

/* Fix for UseInitialStridesCD, emitAddressSetupCode */
s_mul_i32 s56, s[sgprStrideC1J], 4                 // scale stride
_v_add_u32 v2, v2, s56                             // ROWINC- Move cinRowPtr to next row
s_mul_i32 s56, s[sgprStrideD1J], 4                 // scale stride
_v_add_u32 v3, v3, s56                             // Move coutRowPtr to next row
v_cmp_lt_u32 s[56:57], v0, s[sgprSizeI]            // coord0 < size0
v_cmp_lt_u32 s[60:61], v1, s[sgprSizeJ]            // coord1 < size1
s_and_b64 s[60:61], s[56:57], s[60:61]             // in0 && in1
_v_add_lshl_u32 v190, v2, v0, 0x3                  // scaleToBpe: accumulate d0 lower and *= bpe into Cin addr
v_cndmask_b32 v190, -1, v190, s[60:61]             // LDC clip if OOB. offset
_buffer_load_b128 v[208:211], v190, s[sgprSrdC:sgprSrdC+3], 0, offen offset:0 // load C for beta calc
_v_add_lshl_u32 v190, v3, v0, 0x3                  // scaleToBpe: accumulate d0 lower and *= bpe into Cin addr
v_cndmask_b32 v190, -1, v190, s[60:61]             // LDD clip if OOB. offset
/* (d1,vc1,d0,vc0)=(6,0,1,0) */
s_mov_b32 s56, 128                                 // coordOffset0 d0=1 vc0=0
_v_add_co_u32 v4, vcc, v0, s56                     // coord0.2: coord0 += d0*sg0*VW + vc0
v_cmp_lt_u32 s[56:57], v4, s[sgprSizeI]            // coord0 < size0
v_cmp_lt_u32 s[60:61], v1, s[sgprSizeJ]            // coord1 < size1
s_and_b64 s[60:61], s[56:57], s[60:61]             // in0 && in1
_v_add_lshl_u32 v191, v2, v4, 0x3                  // scaleToBpe: accumulate d0 lower and *= bpe into Cin addr
v_cndmask_b32 v191, -1, v191, s[60:61]             // LDC clip if OOB. offset
_buffer_load_b128 v[216:219], v191, s[sgprSrdC:sgprSrdC+3], 0, offen offset:0 // load C for beta calc
_v_add_lshl_u32 v191, v3, v4, 0x3                  // scaleToBpe: accumulate d0 lower and *= bpe into Cin addr
v_cndmask_b32 v191, -1, v191, s[60:61]             // LDD clip if OOB. offset
/* (d1,vc1,d0,vc0)=(6,0,2,0) */
s_mov_b32 s56, 256                                 // coordOffset0 d0=2 vc0=0
_v_add_co_u32 v4, vcc, v0, s56                     // coord0.2: coord0 += d0*sg0*VW + vc0
	;; [unrolled: 11-line block ×3, first 2 shown]
v_cmp_lt_u32 s[56:57], v4, s[sgprSizeI]            // coord0 < size0
v_cmp_lt_u32 s[60:61], v1, s[sgprSizeJ]            // coord1 < size1
s_and_b64 s[60:61], s[56:57], s[60:61]             // in0 && in1
_v_add_lshl_u32 v225, v2, v4, 0x3                  // scaleToBpe: accumulate d0 lower and *= bpe into Cin addr
v_cndmask_b32 v225, -1, v225, s[60:61]             // LDC clip if OOB. offset
_buffer_load_b128 v[236:239], v225, s[sgprSrdC:sgprSrdC+3], 0, offen offset:0 // load C for beta calc
_v_add_lshl_u32 v225, v3, v4, 0x3                  // scaleToBpe: accumulate d0 lower and *= bpe into Cin addr
v_cndmask_b32 v225, -1, v225, s[60:61]             // LDD clip if OOB. offset
v_accvgpr_read_b32 v[vgprValuC+12], acc38 // copy acc to vreg[104]
v_accvgpr_read_b32 v[vgprValuC+13], acc39 // copy acc to vreg[105]
v_accvgpr_read_b32 v[vgprValuC+14], acc46 // copy acc to vreg[106]
v_accvgpr_read_b32 v[vgprValuC+15], acc47 // copy acc to vreg[107]
v_accvgpr_read_b32 v[vgprValuC+20], acc54 // copy acc to vreg[108]
v_accvgpr_read_b32 v[vgprValuC+21], acc55 // copy acc to vreg[109]
v_accvgpr_read_b32 v[vgprValuC+22], acc62 // copy acc to vreg[110]
v_accvgpr_read_b32 v[vgprValuC+23], acc63 // copy acc to vreg[111]
v_accvgpr_read_b32 v[vgprValuC+32], acc70 // copy acc to vreg[112]
v_accvgpr_read_b32 v[vgprValuC+33], acc71 // copy acc to vreg[113]
v_accvgpr_read_b32 v[vgprValuC+34], acc78 // copy acc to vreg[114]
v_accvgpr_read_b32 v[vgprValuC+35], acc79 // copy acc to vreg[115]
v_accvgpr_read_b32 v[vgprValuC+40], acc86 // copy acc to vreg[116]
v_accvgpr_read_b32 v[vgprValuC+41], acc87 // copy acc to vreg[117]
v_accvgpr_read_b32 v[vgprValuC+42], acc94 // copy acc to vreg[118]
v_accvgpr_read_b32 v[vgprValuC+43], acc95 // copy acc to vreg[119]
v_accvgpr_read_b32 v[vgprValuC+48], acc102 // copy acc to vreg[120]
v_accvgpr_read_b32 v[vgprValuC+49], acc103 // copy acc to vreg[121]
v_accvgpr_read_b32 v[vgprValuC+50], acc110 // copy acc to vreg[122]
v_accvgpr_read_b32 v[vgprValuC+51], acc111 // copy acc to vreg[123]
v_accvgpr_read_b32 v[vgprValuC+56], acc118 // copy acc to vreg[124]
v_accvgpr_read_b32 v[vgprValuC+57], acc119 // copy acc to vreg[125]
v_accvgpr_read_b32 v[vgprValuC+58], acc126 // copy acc to vreg[126]
v_accvgpr_read_b32 v[vgprValuC+59], acc127 // copy acc to vreg[127]
v_accvgpr_read_b32 v[vgprValuC+68], acc128 // copy acc to vreg[128]
v_accvgpr_read_b32 v[vgprValuC+69], acc129 // copy acc to vreg[129]
v_accvgpr_read_b32 v[vgprValuC+70], acc136 // copy acc to vreg[130]
v_accvgpr_read_b32 v[vgprValuC+71], acc137 // copy acc to vreg[131]
v_accvgpr_read_b32 v[vgprValuC+76], acc144 // copy acc to vreg[132]
v_accvgpr_read_b32 v[vgprValuC+77], acc145 // copy acc to vreg[133]
v_accvgpr_read_b32 v[vgprValuC+78], acc152 // copy acc to vreg[134]
v_accvgpr_read_b32 v[vgprValuC+79], acc153 // copy acc to vreg[135]
v_accvgpr_read_b32 v[vgprValuC+84], acc160 // copy acc to vreg[136]
v_accvgpr_read_b32 v[vgprValuC+85], acc161 // copy acc to vreg[137]
v_accvgpr_read_b32 v[vgprValuC+86], acc168 // copy acc to vreg[138]
v_accvgpr_read_b32 v[vgprValuC+87], acc169 // copy acc to vreg[139]
v_accvgpr_read_b32 v[vgprValuC+92], acc176 // copy acc to vreg[140]
v_accvgpr_read_b32 v[vgprValuC+93], acc177 // copy acc to vreg[141]
v_accvgpr_read_b32 v[vgprValuC+94], acc184 // copy acc to vreg[142]
v_accvgpr_read_b32 v[vgprValuC+95], acc185 // copy acc to vreg[143]
v_accvgpr_read_b32 v[vgprValuC+104], acc192 // copy acc to vreg[144]
v_accvgpr_read_b32 v[vgprValuC+105], acc193 // copy acc to vreg[145]
v_accvgpr_read_b32 v[vgprValuC+106], acc200 // copy acc to vreg[146]
v_accvgpr_read_b32 v[vgprValuC+107], acc201 // copy acc to vreg[147]
v_accvgpr_read_b32 v[vgprValuC+112], acc208 // copy acc to vreg[148]
v_accvgpr_read_b32 v[vgprValuC+113], acc209 // copy acc to vreg[149]
v_accvgpr_read_b32 v[vgprValuC+114], acc216 // copy acc to vreg[150]
v_accvgpr_read_b32 v[vgprValuC+115], acc217 // copy acc to vreg[151]
v_accvgpr_read_b32 v[vgprValuC+120], acc224 // copy acc to vreg[152]
v_accvgpr_read_b32 v[vgprValuC+121], acc225 // copy acc to vreg[153]
v_accvgpr_read_b32 v[vgprValuC+122], acc232 // copy acc to vreg[154]
v_accvgpr_read_b32 v[vgprValuC+123], acc233 // copy acc to vreg[155]
v_accvgpr_read_b32 v[vgprValuC+128], acc240 // copy acc to vreg[156]
v_accvgpr_read_b32 v[vgprValuC+129], acc241 // copy acc to vreg[157]
v_accvgpr_read_b32 v[vgprValuC+130], acc248 // copy acc to vreg[158]
v_accvgpr_read_b32 v[vgprValuC+131], acc249 // copy acc to vreg[159]
v_accvgpr_read_b32 v[vgprValuC+140], acc130 // copy acc to vreg[160]
v_accvgpr_read_b32 v[vgprValuC+141], acc131 // copy acc to vreg[161]
v_accvgpr_read_b32 v[vgprValuC+142], acc138 // copy acc to vreg[162]
v_accvgpr_read_b32 v[vgprValuC+143], acc139 // copy acc to vreg[163]
v_accvgpr_read_b32 v[vgprValuC+148], acc146 // copy acc to vreg[164]
v_accvgpr_read_b32 v[vgprValuC+149], acc147 // copy acc to vreg[165]
v_accvgpr_read_b32 v[vgprValuC+150], acc154 // copy acc to vreg[166]
v_accvgpr_read_b32 v[vgprValuC+151], acc155 // copy acc to vreg[167]
v_accvgpr_read_b32 v[vgprValuC+160], acc162 // copy acc to vreg[168]
v_accvgpr_read_b32 v[vgprValuC+161], acc163 // copy acc to vreg[169]
v_accvgpr_read_b32 v[vgprValuC+162], acc170 // copy acc to vreg[170]
v_accvgpr_read_b32 v[vgprValuC+163], acc171 // copy acc to vreg[171]
v_accvgpr_read_b32 v[vgprValuC+168], acc178 // copy acc to vreg[172]
v_accvgpr_read_b32 v[vgprValuC+169], acc179 // copy acc to vreg[173]
v_accvgpr_read_b32 v[vgprValuC+170], acc186 // copy acc to vreg[174]
v_accvgpr_read_b32 v[vgprValuC+171], acc187 // copy acc to vreg[175]
v_accvgpr_read_b32 v[vgprValuC+176], acc194 // copy acc to vreg[176]
v_accvgpr_read_b32 v[vgprValuC+177], acc195 // copy acc to vreg[177]
v_accvgpr_read_b32 v[vgprValuC+178], acc202 // copy acc to vreg[178]
v_accvgpr_read_b32 v[vgprValuC+179], acc203 // copy acc to vreg[179]
v_accvgpr_read_b32 v[vgprValuC+184], acc210 // copy acc to vreg[180]
v_accvgpr_read_b32 v[vgprValuC+185], acc211 // copy acc to vreg[181]
v_accvgpr_read_b32 v[vgprValuC+186], acc218 // copy acc to vreg[182]
v_accvgpr_read_b32 v[vgprValuC+187], acc219 // copy acc to vreg[183]
v_accvgpr_read_b32 v[vgprValuC+196], acc226 // copy acc to vreg[184]
v_accvgpr_read_b32 v[vgprValuC+197], acc227 // copy acc to vreg[185]
v_accvgpr_read_b32 v[vgprValuC+198], acc234 // copy acc to vreg[186]
v_accvgpr_read_b32 v[vgprValuC+199], acc235 // copy acc to vreg[187]
v_accvgpr_read_b32 v[vgprValuC+204], acc242 // copy acc to vreg[188]
v_accvgpr_read_b32 v[vgprValuC+205], acc243 // copy acc to vreg[189]
v_accvgpr_read_b32 v[vgprValuC+206], acc250 // copy acc to vreg[190]
v_accvgpr_read_b32 v[vgprValuC+207], acc251 // copy acc to vreg[191]
v_accvgpr_read_b32 v[vgprValuC+212], acc132 // copy acc to vreg[192]
v_accvgpr_read_b32 v[vgprValuC+213], acc133 // copy acc to vreg[193]
v_accvgpr_read_b32 v[vgprValuC+214], acc140 // copy acc to vreg[194]
v_accvgpr_read_b32 v[vgprValuC+215], acc141 // copy acc to vreg[195]
v_accvgpr_read_b32 v[vgprValuC+220], acc148 // copy acc to vreg[196]
v_accvgpr_read_b32 v[vgprValuC+221], acc149 // copy acc to vreg[197]
v_accvgpr_read_b32 v[vgprValuC+222], acc156 // copy acc to vreg[198]
v_accvgpr_read_b32 v[vgprValuC+223], acc157 // copy acc to vreg[199]
v_accvgpr_read_b32 v[vgprValuC+232], acc164 // copy acc to vreg[200]
v_accvgpr_read_b32 v[vgprValuC+233], acc165 // copy acc to vreg[201]
v_accvgpr_read_b32 v[vgprValuC+234], acc172 // copy acc to vreg[202]
v_accvgpr_read_b32 v[vgprValuC+235], acc173 // copy acc to vreg[203]
v_accvgpr_read_b32 v[vgprValuC+240], acc180 // copy acc to vreg[204]
v_accvgpr_read_b32 v[vgprValuC+241], acc181 // copy acc to vreg[205]
v_accvgpr_read_b32 v[vgprValuC+242], acc188 // copy acc to vreg[206]
v_accvgpr_read_b32 v[vgprValuC+243], acc189 // copy acc to vreg[207]
s_nop 1                                            // 2 wait states required before reading vgpr

/* rC *= alpha batchElements=[(3, 2, 0, 0), (3, 3, 0, 0), (3, 4, 0, 0), (3, 5, 0, 0), (3, 6, 0, 0), (3, 7, 0, 0), (4, 0, 0, 0), (4, 1, 0, 0), (4, 2, 0, 0), (4, 3, 0, 0), (4, 4, 0, 0), (4, 5, 0, 0), (4, 6, 0, 0), (4, 7, 0, 0), (5, 0, 0, 0), (5, 1, 0, 0), (5, 2, 0, 0), (5, 3, 0, 0), (5, 4, 0, 0), (5, 5, 0, 0), (5, 6, 0, 0), (5, 7, 0, 0), (6, 0, 0, 0), (6, 1, 0, 0), (6, 2, 0, 0), (6, 3, 0, 0)] */
v_mul_f64 v[vgprValuC+12:vgprValuC+12+1], s[sgprAlpha:sgprAlpha+1], v[vgprValuC+12:vgprValuC+12+1] // *= alpha
v_mul_f64 v[vgprValuC+14:vgprValuC+14+1], s[sgprAlpha:sgprAlpha+1], v[vgprValuC+14:vgprValuC+14+1] // *= alpha
	;; [unrolled: 1-line block ×52, first 2 shown]
s_waitcnt vmcnt(0)                                 // wait C

/* apply mask, calc new C and issue writes */
v_fma_f64 v[vgprValuC+12:vgprValuC+12+1], v[8:9], s[sgprBeta:sgprBeta+1], v[vgprValuC+12:vgprValuC+12+1] // finalSum = sum*alpha + C*beta
v_fma_f64 v[vgprValuC+14:vgprValuC+14+1], v[10:11], s[sgprBeta:sgprBeta+1], v[vgprValuC+14:vgprValuC+14+1] // finalSum = sum*alpha + C*beta
_buffer_store_b128 v[12:15], v6, s[sgprSrdD:sgprSrdD+3], 0, offen, offset:0 // store D
v_fma_f64 v[vgprValuC+20:vgprValuC+20+1], v[16:17], s[sgprBeta:sgprBeta+1], v[vgprValuC+20:vgprValuC+20+1] // finalSum = sum*alpha + C*beta
v_fma_f64 v[vgprValuC+22:vgprValuC+22+1], v[18:19], s[sgprBeta:sgprBeta+1], v[vgprValuC+22:vgprValuC+22+1] // finalSum = sum*alpha + C*beta
_buffer_store_b128 v[20:23], v7, s[sgprSrdD:sgprSrdD+3], 0, offen, offset:0 // store D
	;; [unrolled: 3-line block ×26, first 2 shown]
s_nop 0                                            // 1 wait state required when next inst writes vgprs held by previous dwordx4 store inst
/* optSingleColVgpr=0 optSharedColVgpr=0 optSGPRUsage=BufferLoad_Edge_Mask optSrdIncForRow=0 */

/******************************************/
/* Global Write Alpha Beta Edge Batch #2 (d1,d0,vc1,vc0) = */
/*    (6,4,0,0:vw2); (6,5,0,0:vw2); (6,6,0,0:vw2); (6,7,0,0:vw2); (7,0,0,0:vw2); (7,1,0,0:vw2); (7,2,0,0:vw2); (7,3,0,0:vw2); (7,4,0,0:vw2); (7,5,0,0:vw2); (7,6,0,0:vw2); (7,7,0,0:vw2) */
/******************************************/

/* calc coords, apply mask, and issue loads (if necessary) */
/* (d1,vc1,d0,vc0)=(6,0,4,0) */
s_mov_b32 s56, 512                                 // coordOffset0 d0=4 vc0=0
_v_add_co_u32 v4, vcc, v0, s56                     // coord0.2: coord0 += d0*sg0*VW + vc0
v_cmp_lt_u32 s[56:57], v4, s[sgprSizeI]            // coord0 < size0
v_cmp_lt_u32 s[60:61], v1, s[sgprSizeJ]            // coord1 < size1
s_and_b64 s[60:61], s[56:57], s[60:61]             // in0 && in1
_v_add_lshl_u32 v6, v2, v4, 0x3                    // scaleToBpe: accumulate d0 lower and *= bpe into Cin addr
v_cndmask_b32 v6, -1, v6, s[60:61]                 // LDC clip if OOB. offset
_buffer_load_b128 v[8:11], v6, s[sgprSrdC:sgprSrdC+3], 0, offen offset:0 // load C for beta calc
_v_add_lshl_u32 v6, v3, v4, 0x3                    // scaleToBpe: accumulate d0 lower and *= bpe into Cin addr
v_cndmask_b32 v6, -1, v6, s[60:61]                 // LDD clip if OOB. offset
/* (d1,vc1,d0,vc0)=(6,0,5,0) */
s_mov_b32 s56, 640                                 // coordOffset0 d0=5 vc0=0
_v_add_co_u32 v4, vcc, v0, s56                     // coord0.2: coord0 += d0*sg0*VW + vc0
v_cmp_lt_u32 s[56:57], v4, s[sgprSizeI]            // coord0 < size0
v_cmp_lt_u32 s[60:61], v1, s[sgprSizeJ]            // coord1 < size1
s_and_b64 s[60:61], s[56:57], s[60:61]             // in0 && in1
_v_add_lshl_u32 v7, v2, v4, 0x3                    // scaleToBpe: accumulate d0 lower and *= bpe into Cin addr
v_cndmask_b32 v7, -1, v7, s[60:61]                 // LDC clip if OOB. offset
_buffer_load_b128 v[16:19], v7, s[sgprSrdC:sgprSrdC+3], 0, offen offset:0 // load C for beta calc
_v_add_lshl_u32 v7, v3, v4, 0x3                    // scaleToBpe: accumulate d0 lower and *= bpe into Cin addr
v_cndmask_b32 v7, -1, v7, s[60:61]                 // LDD clip if OOB. offset
/* (d1,vc1,d0,vc0)=(6,0,6,0) */
s_mov_b32 s56, 768                                 // coordOffset0 d0=6 vc0=0
_v_add_co_u32 v4, vcc, v0, s56                     // coord0.2: coord0 += d0*sg0*VW + vc0
v_cmp_lt_u32 s[56:57], v4, s[sgprSizeI]            // coord0 < size0
v_cmp_lt_u32 s[60:61], v1, s[sgprSizeJ]            // coord1 < size1
s_and_b64 s[60:61], s[56:57], s[60:61]             // in0 && in1
_v_add_lshl_u32 v24, v2, v4, 0x3                   // scaleToBpe: accumulate d0 lower and *= bpe into Cin addr
v_cndmask_b32 v24, -1, v24, s[60:61]               // LDC clip if OOB. offset
_buffer_load_b128 v[28:31], v24, s[sgprSrdC:sgprSrdC+3], 0, offen offset:0 // load C for beta calc
_v_add_lshl_u32 v24, v3, v4, 0x3                   // scaleToBpe: accumulate d0 lower and *= bpe into Cin addr
v_cndmask_b32 v24, -1, v24, s[60:61]               // LDD clip if OOB. offset
/* (d1,vc1,d0,vc0)=(6,0,7,0) */
s_mov_b32 s56, 896                                 // coordOffset0 d0=7 vc0=0
_v_add_co_u32 v4, vcc, v0, s56                     // coord0.2: coord0 += d0*sg0*VW + vc0
v_cmp_lt_u32 s[56:57], v4, s[sgprSizeI]            // coord0 < size0
v_cmp_lt_u32 s[60:61], v1, s[sgprSizeJ]            // coord1 < size1
s_and_b64 s[60:61], s[56:57], s[60:61]             // in0 && in1
_v_add_lshl_u32 v25, v2, v4, 0x3                   // scaleToBpe: accumulate d0 lower and *= bpe into Cin addr
v_cndmask_b32 v25, -1, v25, s[60:61]               // LDC clip if OOB. offset
_buffer_load_b128 v[36:39], v25, s[sgprSrdC:sgprSrdC+3], 0, offen offset:0 // load C for beta calc
_v_add_lshl_u32 v25, v3, v4, 0x3                   // scaleToBpe: accumulate d0 lower and *= bpe into Cin addr
v_cndmask_b32 v25, -1, v25, s[60:61]               // LDD clip if OOB. offset
/* (d1,vc1,d0,vc0)=(7,0,0,0) */
_v_add_co_u32 v1, vcc, v1, 4                       // coord1.1: coord1Vgpr += d1*sg1*VW + vc1

/* Fix for UseInitialStridesCD, emitAddressSetupCode */
s_mul_i32 s56, s[sgprStrideC1J], 4                 // scale stride
_v_add_u32 v2, v2, s56                             // ROWINC- Move cinRowPtr to next row
s_mul_i32 s56, s[sgprStrideD1J], 4                 // scale stride
_v_add_u32 v3, v3, s56                             // Move coutRowPtr to next row
v_cmp_lt_u32 s[56:57], v0, s[sgprSizeI]            // coord0 < size0
v_cmp_lt_u32 s[60:61], v1, s[sgprSizeJ]            // coord1 < size1
s_and_b64 s[60:61], s[56:57], s[60:61]             // in0 && in1
_v_add_lshl_u32 v26, v2, v0, 0x3                   // scaleToBpe: accumulate d0 lower and *= bpe into Cin addr
v_cndmask_b32 v26, -1, v26, s[60:61]               // LDC clip if OOB. offset
_buffer_load_b128 v[44:47], v26, s[sgprSrdC:sgprSrdC+3], 0, offen offset:0 // load C for beta calc
_v_add_lshl_u32 v26, v3, v0, 0x3                   // scaleToBpe: accumulate d0 lower and *= bpe into Cin addr
v_cndmask_b32 v26, -1, v26, s[60:61]               // LDD clip if OOB. offset
/* (d1,vc1,d0,vc0)=(7,0,1,0) */
s_mov_b32 s56, 128                                 // coordOffset0 d0=1 vc0=0
_v_add_co_u32 v4, vcc, v0, s56                     // coord0.2: coord0 += d0*sg0*VW + vc0
v_cmp_lt_u32 s[56:57], v4, s[sgprSizeI]            // coord0 < size0
v_cmp_lt_u32 s[60:61], v1, s[sgprSizeJ]            // coord1 < size1
s_and_b64 s[60:61], s[56:57], s[60:61]             // in0 && in1
_v_add_lshl_u32 v27, v2, v4, 0x3                   // scaleToBpe: accumulate d0 lower and *= bpe into Cin addr
v_cndmask_b32 v27, -1, v27, s[60:61]               // LDC clip if OOB. offset
_buffer_load_b128 v[52:55], v27, s[sgprSrdC:sgprSrdC+3], 0, offen offset:0 // load C for beta calc
_v_add_lshl_u32 v27, v3, v4, 0x3                   // scaleToBpe: accumulate d0 lower and *= bpe into Cin addr
v_cndmask_b32 v27, -1, v27, s[60:61]               // LDD clip if OOB. offset
/* (d1,vc1,d0,vc0)=(7,0,2,0) */
s_mov_b32 s56, 256                                 // coordOffset0 d0=2 vc0=0
_v_add_co_u32 v4, vcc, v0, s56                     // coord0.2: coord0 += d0*sg0*VW + vc0
	;; [unrolled: 11-line block ×7, first 2 shown]
v_cmp_lt_u32 s[56:57], v4, s[sgprSizeI]            // coord0 < size0
v_cmp_lt_u32 s[60:61], v1, s[sgprSizeJ]            // coord1 < size1
s_and_b64 s[60:61], s[56:57], s[60:61]             // in0 && in1
_v_add_lshl_u32 v97, v2, v4, 0x3                   // scaleToBpe: accumulate d0 lower and *= bpe into Cin addr
v_cndmask_b32 v97, -1, v97, s[60:61]               // LDC clip if OOB. offset
_buffer_load_b128 v[108:111], v97, s[sgprSrdC:sgprSrdC+3], 0, offen offset:0 // load C for beta calc
_v_add_lshl_u32 v97, v3, v4, 0x3                   // scaleToBpe: accumulate d0 lower and *= bpe into Cin addr
v_cndmask_b32 v97, -1, v97, s[60:61]               // LDD clip if OOB. offset
v_accvgpr_read_b32 v[vgprValuC+12], acc196 // copy acc to vreg[208]
v_accvgpr_read_b32 v[vgprValuC+13], acc197 // copy acc to vreg[209]
v_accvgpr_read_b32 v[vgprValuC+14], acc204 // copy acc to vreg[210]
v_accvgpr_read_b32 v[vgprValuC+15], acc205 // copy acc to vreg[211]
v_accvgpr_read_b32 v[vgprValuC+20], acc212 // copy acc to vreg[212]
v_accvgpr_read_b32 v[vgprValuC+21], acc213 // copy acc to vreg[213]
v_accvgpr_read_b32 v[vgprValuC+22], acc220 // copy acc to vreg[214]
v_accvgpr_read_b32 v[vgprValuC+23], acc221 // copy acc to vreg[215]
v_accvgpr_read_b32 v[vgprValuC+32], acc228 // copy acc to vreg[216]
v_accvgpr_read_b32 v[vgprValuC+33], acc229 // copy acc to vreg[217]
v_accvgpr_read_b32 v[vgprValuC+34], acc236 // copy acc to vreg[218]
v_accvgpr_read_b32 v[vgprValuC+35], acc237 // copy acc to vreg[219]
v_accvgpr_read_b32 v[vgprValuC+40], acc244 // copy acc to vreg[220]
v_accvgpr_read_b32 v[vgprValuC+41], acc245 // copy acc to vreg[221]
v_accvgpr_read_b32 v[vgprValuC+42], acc252 // copy acc to vreg[222]
v_accvgpr_read_b32 v[vgprValuC+43], acc253 // copy acc to vreg[223]
v_accvgpr_read_b32 v[vgprValuC+48], acc134 // copy acc to vreg[224]
v_accvgpr_read_b32 v[vgprValuC+49], acc135 // copy acc to vreg[225]
v_accvgpr_read_b32 v[vgprValuC+50], acc142 // copy acc to vreg[226]
v_accvgpr_read_b32 v[vgprValuC+51], acc143 // copy acc to vreg[227]
v_accvgpr_read_b32 v[vgprValuC+56], acc150 // copy acc to vreg[228]
v_accvgpr_read_b32 v[vgprValuC+57], acc151 // copy acc to vreg[229]
v_accvgpr_read_b32 v[vgprValuC+58], acc158 // copy acc to vreg[230]
v_accvgpr_read_b32 v[vgprValuC+59], acc159 // copy acc to vreg[231]
v_accvgpr_read_b32 v[vgprValuC+68], acc166 // copy acc to vreg[232]
v_accvgpr_read_b32 v[vgprValuC+69], acc167 // copy acc to vreg[233]
v_accvgpr_read_b32 v[vgprValuC+70], acc174 // copy acc to vreg[234]
v_accvgpr_read_b32 v[vgprValuC+71], acc175 // copy acc to vreg[235]
v_accvgpr_read_b32 v[vgprValuC+76], acc182 // copy acc to vreg[236]
v_accvgpr_read_b32 v[vgprValuC+77], acc183 // copy acc to vreg[237]
v_accvgpr_read_b32 v[vgprValuC+78], acc190 // copy acc to vreg[238]
v_accvgpr_read_b32 v[vgprValuC+79], acc191 // copy acc to vreg[239]
v_accvgpr_read_b32 v[vgprValuC+84], acc198 // copy acc to vreg[240]
v_accvgpr_read_b32 v[vgprValuC+85], acc199 // copy acc to vreg[241]
v_accvgpr_read_b32 v[vgprValuC+86], acc206 // copy acc to vreg[242]
v_accvgpr_read_b32 v[vgprValuC+87], acc207 // copy acc to vreg[243]
v_accvgpr_read_b32 v[vgprValuC+92], acc214 // copy acc to vreg[244]
v_accvgpr_read_b32 v[vgprValuC+93], acc215 // copy acc to vreg[245]
v_accvgpr_read_b32 v[vgprValuC+94], acc222 // copy acc to vreg[246]
v_accvgpr_read_b32 v[vgprValuC+95], acc223 // copy acc to vreg[247]
v_accvgpr_read_b32 v[vgprValuC+104], acc230 // copy acc to vreg[248]
v_accvgpr_read_b32 v[vgprValuC+105], acc231 // copy acc to vreg[249]
v_accvgpr_read_b32 v[vgprValuC+106], acc238 // copy acc to vreg[250]
v_accvgpr_read_b32 v[vgprValuC+107], acc239 // copy acc to vreg[251]
v_accvgpr_read_b32 v[vgprValuC+112], acc246 // copy acc to vreg[252]
v_accvgpr_read_b32 v[vgprValuC+113], acc247 // copy acc to vreg[253]
v_accvgpr_read_b32 v[vgprValuC+114], acc254 // copy acc to vreg[254]
v_accvgpr_read_b32 v[vgprValuC+115], acc255 // copy acc to vreg[255]
s_nop 1                                            // 2 wait states required before reading vgpr

/* rC *= alpha batchElements=[(6, 4, 0, 0), (6, 5, 0, 0), (6, 6, 0, 0), (6, 7, 0, 0), (7, 0, 0, 0), (7, 1, 0, 0), (7, 2, 0, 0), (7, 3, 0, 0), (7, 4, 0, 0), (7, 5, 0, 0), (7, 6, 0, 0), (7, 7, 0, 0)] */
v_mul_f64 v[vgprValuC+12:vgprValuC+12+1], s[sgprAlpha:sgprAlpha+1], v[vgprValuC+12:vgprValuC+12+1] // *= alpha
v_mul_f64 v[vgprValuC+14:vgprValuC+14+1], s[sgprAlpha:sgprAlpha+1], v[vgprValuC+14:vgprValuC+14+1] // *= alpha
	;; [unrolled: 1-line block ×24, first 2 shown]
s_waitcnt vmcnt(0)                                 // wait C

/* apply mask, calc new C and issue writes */
v_fma_f64 v[vgprValuC+12:vgprValuC+12+1], v[8:9], s[sgprBeta:sgprBeta+1], v[vgprValuC+12:vgprValuC+12+1] // finalSum = sum*alpha + C*beta
v_fma_f64 v[vgprValuC+14:vgprValuC+14+1], v[10:11], s[sgprBeta:sgprBeta+1], v[vgprValuC+14:vgprValuC+14+1] // finalSum = sum*alpha + C*beta
_buffer_store_b128 v[12:15], v6, s[sgprSrdD:sgprSrdD+3], 0, offen, offset:0 // store D
v_fma_f64 v[vgprValuC+20:vgprValuC+20+1], v[16:17], s[sgprBeta:sgprBeta+1], v[vgprValuC+20:vgprValuC+20+1] // finalSum = sum*alpha + C*beta
v_fma_f64 v[vgprValuC+22:vgprValuC+22+1], v[18:19], s[sgprBeta:sgprBeta+1], v[vgprValuC+22:vgprValuC+22+1] // finalSum = sum*alpha + C*beta
_buffer_store_b128 v[20:23], v7, s[sgprSrdD:sgprSrdD+3], 0, offen, offset:0 // store D
	;; [unrolled: 3-line block ×12, first 2 shown]
s_nop 0                                            // 1 wait state required when next inst writes vgprs held by previous dwordx4 store inst
s_branch label_GW_End_46                           // jump to end
label_GW_End_46:

label_0051:  /// KernelEnd
s_endpgm                                           // Kernel End

